;; amdgpu-corpus repo=ROCm/rocFFT kind=compiled arch=gfx1030 opt=O3
	.text
	.amdgcn_target "amdgcn-amd-amdhsa--gfx1030"
	.amdhsa_code_object_version 6
	.protected	bluestein_single_back_len182_dim1_dp_op_CI_CI ; -- Begin function bluestein_single_back_len182_dim1_dp_op_CI_CI
	.globl	bluestein_single_back_len182_dim1_dp_op_CI_CI
	.p2align	8
	.type	bluestein_single_back_len182_dim1_dp_op_CI_CI,@function
bluestein_single_back_len182_dim1_dp_op_CI_CI: ; @bluestein_single_back_len182_dim1_dp_op_CI_CI
; %bb.0:
	s_load_dwordx4 s[12:15], s[4:5], 0x28
	v_mul_u32_u24_e32 v1, 0x13b2, v0
	s_mov_b64 s[70:71], s[2:3]
	s_mov_b64 s[68:69], s[0:1]
	v_mov_b32_e32 v5, 0
	s_add_u32 s68, s68, s7
	v_lshrrev_b32_e32 v55, 16, v1
	s_addc_u32 s69, s69, 0
	s_mov_b32 s0, exec_lo
	v_lshl_add_u32 v4, s6, 2, v55
	s_waitcnt lgkmcnt(0)
	v_cmpx_gt_u64_e64 s[12:13], v[4:5]
	s_cbranch_execz .LBB0_15
; %bb.1:
	s_clause 0x1
	s_load_dwordx4 s[8:11], s[4:5], 0x18
	s_load_dwordx2 s[34:35], s[4:5], 0x0
	v_mul_lo_u16 v1, v55, 13
	v_mov_b32_e32 v5, v4
	s_load_dwordx2 s[64:65], s[4:5], 0x38
	v_sub_nc_u16 v54, v0, v1
	v_and_b32_e32 v232, 0xffff, v54
	v_lshlrev_b32_e32 v204, 4, v232
	s_waitcnt lgkmcnt(0)
	s_load_dwordx4 s[0:3], s[8:9], 0x0
	buffer_store_dword v5, off, s[68:71], 0 offset:4 ; 4-byte Folded Spill
	buffer_store_dword v6, off, s[68:71], 0 offset:8 ; 4-byte Folded Spill
	s_waitcnt lgkmcnt(0)
	v_mad_u64_u32 v[0:1], null, s2, v4, 0
	v_mad_u64_u32 v[2:3], null, s0, v232, 0
	s_mul_i32 s2, s1, 0xe0
	s_mul_i32 s6, s0, 0xe0
	v_mad_u64_u32 v[4:5], null, s3, v4, v[1:2]
	s_mul_hi_u32 s3, s0, 0xe0
	s_add_i32 s3, s3, s2
	v_mad_u64_u32 v[5:6], null, s1, v232, v[3:4]
	v_mov_b32_e32 v1, v4
	v_or_b32_e32 v6, 0x70, v232
	v_lshlrev_b64 v[0:1], 4, v[0:1]
	v_mov_b32_e32 v3, v5
	buffer_store_dword v6, off, s[68:71], 0 ; 4-byte Folded Spill
	s_clause 0x3
	global_load_dwordx4 v[132:135], v204, s[34:35]
	global_load_dwordx4 v[48:51], v204, s[34:35] offset:224
	global_load_dwordx4 v[152:155], v204, s[34:35] offset:448
	;; [unrolled: 1-line block ×3, first 2 shown]
	v_lshlrev_b64 v[2:3], 4, v[2:3]
	v_add_co_u32 v52, vcc_lo, s14, v0
	v_add_co_ci_u32_e32 v53, vcc_lo, s15, v1, vcc_lo
	v_mad_u64_u32 v[0:1], null, s0, v6, 0
	v_add_co_u32 v4, vcc_lo, v52, v2
	v_add_co_ci_u32_e32 v5, vcc_lo, v53, v3, vcc_lo
	v_add_co_u32 v3, s2, s34, v204
	v_add_co_u32 v12, vcc_lo, v4, s6
	v_add_co_ci_u32_e32 v13, vcc_lo, s3, v5, vcc_lo
	v_mad_u64_u32 v[1:2], null, s1, v6, v[1:2]
	v_add_co_u32 v14, vcc_lo, v12, s6
	v_add_co_ci_u32_e32 v15, vcc_lo, s3, v13, vcc_lo
	v_add_co_ci_u32_e64 v8, null, s35, 0, s2
	v_add_co_u32 v16, vcc_lo, v14, s6
	v_add_co_ci_u32_e32 v17, vcc_lo, s3, v15, vcc_lo
	v_lshlrev_b64 v[0:1], 4, v[0:1]
	v_add_co_u32 v18, vcc_lo, v16, s6
	v_add_co_ci_u32_e32 v19, vcc_lo, s3, v17, vcc_lo
	v_add_co_u32 v20, vcc_lo, v18, s6
	v_add_co_ci_u32_e32 v21, vcc_lo, s3, v19, vcc_lo
	;; [unrolled: 2-line block ×5, first 2 shown]
	s_clause 0x2
	global_load_dwordx4 v[24:27], v204, s[34:35] offset:1792
	global_load_dwordx4 v[40:43], v204, s[34:35] offset:896
	;; [unrolled: 1-line block ×3, first 2 shown]
	s_clause 0x1
	global_load_dwordx4 v[56:59], v[4:5], off
	global_load_dwordx4 v[60:63], v[6:7], off
	v_mad_u64_u32 v[92:93], null, 0x1c0, s0, v[88:89]
	v_add_co_u32 v104, vcc_lo, 0x800, v3
	v_add_co_ci_u32_e32 v105, vcc_lo, 0, v8, vcc_lo
	s_clause 0x2
	global_load_dwordx4 v[32:35], v204, s[34:35] offset:1344
	global_load_dwordx4 v[28:31], v204, s[34:35] offset:1568
	global_load_dwordx4 v[4:7], v204, s[34:35] offset:2016
	v_and_b32_e32 v0, 3, v55
	v_mov_b32_e32 v64, v93
	v_mul_u32_u24_e32 v205, 0xb6, v0
	v_mad_u64_u32 v[90:91], null, 0x1c0, s1, v[64:65]
	s_clause 0x3
	global_load_dwordx4 v[64:67], v[12:13], off
	global_load_dwordx4 v[68:71], v[14:15], off
	;; [unrolled: 1-line block ×6, first 2 shown]
	v_add_co_u32 v12, vcc_lo, v92, s6
	v_lshlrev_b32_e32 v245, 4, v205
	v_mov_b32_e32 v93, v90
	global_load_dwordx4 v[88:91], v[88:89], off
	v_add_nc_u32_e32 v248, v245, v204
	v_add_co_ci_u32_e32 v13, vcc_lo, s3, v93, vcc_lo
	v_add_co_u32 v20, vcc_lo, v12, s6
	global_load_dwordx4 v[92:95], v[92:93], off
	v_add_co_ci_u32_e32 v21, vcc_lo, s3, v13, vcc_lo
	v_add_co_u32 v106, vcc_lo, v20, s6
	global_load_dwordx4 v[96:99], v[12:13], off
	v_add_co_ci_u32_e32 v107, vcc_lo, s3, v21, vcc_lo
	s_clause 0x1
	global_load_dwordx4 v[12:15], v[104:105], off offset:192
	global_load_dwordx4 v[8:11], v[104:105], off offset:416
	global_load_dwordx4 v[100:103], v[20:21], off
	global_load_dwordx4 v[16:19], v[104:105], off offset:640
	global_load_dwordx4 v[104:107], v[106:107], off
	v_cmp_eq_u16_e32 vcc_lo, 0, v54
	s_waitcnt vmcnt(18)
	v_mul_f64 v[108:109], v[58:59], v[134:135]
	v_mul_f64 v[110:111], v[56:57], v[134:135]
	s_waitcnt vmcnt(17)
	v_mul_f64 v[112:113], v[62:63], v[26:27]
	v_mul_f64 v[114:115], v[60:61], v[26:27]
	;; [unrolled: 3-line block ×6, first 2 shown]
	v_fma_f64 v[55:56], v[56:57], v[132:133], v[108:109]
	buffer_store_dword v132, off, s[68:71], 0 offset:204 ; 4-byte Folded Spill
	buffer_store_dword v133, off, s[68:71], 0 offset:208 ; 4-byte Folded Spill
	;; [unrolled: 1-line block ×4, first 2 shown]
	s_waitcnt vmcnt(9)
	v_mul_f64 v[108:109], v[82:83], v[38:39]
	s_waitcnt vmcnt(7)
	v_mul_f64 v[134:135], v[88:89], v[30:31]
	;; [unrolled: 2-line block ×3, first 2 shown]
	v_mul_f64 v[138:139], v[92:93], v[6:7]
	s_waitcnt vmcnt(4)
	v_mul_f64 v[140:141], v[98:99], v[14:15]
	v_mul_f64 v[142:143], v[96:97], v[14:15]
	s_waitcnt vmcnt(2)
	v_mul_f64 v[144:145], v[102:103], v[10:11]
	;; [unrolled: 3-line block ×3, first 2 shown]
	v_mul_f64 v[150:151], v[104:105], v[18:19]
	v_fma_f64 v[57:58], v[58:59], v[132:133], -v[110:111]
	v_fma_f64 v[59:60], v[60:61], v[24:25], v[112:113]
	buffer_store_dword v24, off, s[68:71], 0 offset:12 ; 4-byte Folded Spill
	buffer_store_dword v25, off, s[68:71], 0 offset:16 ; 4-byte Folded Spill
	;; [unrolled: 1-line block ×4, first 2 shown]
	v_mul_f64 v[110:111], v[80:81], v[38:39]
	v_mul_f64 v[112:113], v[86:87], v[34:35]
	;; [unrolled: 1-line block ×3, first 2 shown]
	v_fma_f64 v[61:62], v[62:63], v[24:25], -v[114:115]
	v_fma_f64 v[63:64], v[64:65], v[48:49], v[116:117]
	buffer_store_dword v48, off, s[68:71], 0 offset:172 ; 4-byte Folded Spill
	buffer_store_dword v49, off, s[68:71], 0 offset:176 ; 4-byte Folded Spill
	;; [unrolled: 1-line block ×4, first 2 shown]
	v_mul_f64 v[114:115], v[84:85], v[34:35]
	v_fma_f64 v[65:66], v[66:67], v[48:49], -v[118:119]
	v_fma_f64 v[67:68], v[68:69], v[152:153], v[120:121]
	buffer_store_dword v152, off, s[68:71], 0 offset:188 ; 4-byte Folded Spill
	buffer_store_dword v153, off, s[68:71], 0 offset:192 ; 4-byte Folded Spill
	buffer_store_dword v154, off, s[68:71], 0 offset:196 ; 4-byte Folded Spill
	buffer_store_dword v155, off, s[68:71], 0 offset:200 ; 4-byte Folded Spill
	v_fma_f64 v[69:70], v[70:71], v[152:153], -v[122:123]
	v_fma_f64 v[71:72], v[72:73], v[44:45], v[124:125]
	buffer_store_dword v44, off, s[68:71], 0 offset:156 ; 4-byte Folded Spill
	buffer_store_dword v45, off, s[68:71], 0 offset:160 ; 4-byte Folded Spill
	buffer_store_dword v46, off, s[68:71], 0 offset:164 ; 4-byte Folded Spill
	buffer_store_dword v47, off, s[68:71], 0 offset:168 ; 4-byte Folded Spill
	;; [unrolled: 6-line block ×10, first 2 shown]
	s_load_dwordx4 s[8:11], s[10:11], 0x0
	ds_write_b128 v248, v[55:58]
	ds_write_b128 v248, v[63:66] offset:224
	ds_write_b128 v248, v[67:70] offset:448
	;; [unrolled: 1-line block ×8, first 2 shown]
	v_fma_f64 v[105:106], v[106:107], v[16:17], -v[150:151]
	ds_write_b128 v248, v[91:94] offset:2016
	ds_write_b128 v248, v[95:98] offset:2240
	;; [unrolled: 1-line block ×4, first 2 shown]
	s_and_saveexec_b32 s6, vcc_lo
	s_cbranch_execz .LBB0_3
; %bb.2:
	v_mad_u64_u32 v[58:59], null, 0x1b0, s0, v[52:53]
	v_mad_u64_u32 v[54:55], null, 0xd0, s0, v[52:53]
	;; [unrolled: 1-line block ×4, first 2 shown]
	v_mov_b32_e32 v56, v59
	v_mad_u64_u32 v[70:71], null, 0x450, s0, v[52:53]
	v_mad_u64_u32 v[74:75], null, 0x530, s0, v[52:53]
	v_mov_b32_e32 v57, v63
	v_mad_u64_u32 v[59:60], null, 0xd0, s1, v[55:56]
	v_mad_u64_u32 v[78:79], null, 0x610, s0, v[52:53]
	;; [unrolled: 1-line block ×4, first 2 shown]
	v_mov_b32_e32 v57, v67
	v_mov_b32_e32 v55, v59
	v_mad_u64_u32 v[82:83], null, 0x6f0, s0, v[52:53]
	v_mov_b32_e32 v59, v60
	v_mad_u64_u32 v[67:68], null, 0x370, s1, v[57:58]
	v_mov_b32_e32 v63, v56
	global_load_dwordx4 v[54:57], v[54:55], off
	v_mov_b32_e32 v60, v71
	v_mad_u64_u32 v[86:87], null, 0x7d0, s0, v[52:53]
	v_mad_u64_u32 v[90:91], null, 0x8b0, s0, v[52:53]
	;; [unrolled: 1-line block ×3, first 2 shown]
	v_mov_b32_e32 v69, v79
	v_mad_u64_u32 v[94:95], null, 0x990, s0, v[52:53]
	v_mad_u64_u32 v[98:99], null, 0xa70, s0, v[52:53]
	v_mad_u64_u32 v[52:53], null, 0xb50, s0, v[52:53]
	v_mov_b32_e32 v71, v68
	v_mov_b32_e32 v68, v75
	s_clause 0x1
	global_load_dwordx4 v[58:61], v[58:59], off
	global_load_dwordx4 v[62:65], v[62:63], off
	v_mad_u64_u32 v[75:76], null, 0x530, s1, v[68:69]
	v_mad_u64_u32 v[76:77], null, 0x610, s1, v[69:70]
	v_mov_b32_e32 v77, v83
	s_clause 0x1
	global_load_dwordx4 v[66:69], v[66:67], off
	global_load_dwordx4 v[70:73], v[70:71], off
	v_mad_u64_u32 v[80:81], null, 0x6f0, s1, v[77:78]
	v_mov_b32_e32 v77, v87
	v_mov_b32_e32 v79, v76
	v_mad_u64_u32 v[76:77], null, 0x7d0, s1, v[77:78]
	v_mov_b32_e32 v77, v91
	v_mov_b32_e32 v83, v80
	;; [unrolled: 3-line block ×3, first 2 shown]
	v_mov_b32_e32 v77, v99
	v_mov_b32_e32 v91, v84
	v_mad_u64_u32 v[88:89], null, 0x990, s1, v[76:77]
	v_mad_u64_u32 v[92:93], null, 0xa70, s1, v[77:78]
	s_clause 0x2
	global_load_dwordx4 v[74:77], v[74:75], off
	global_load_dwordx4 v[78:81], v[78:79], off
	;; [unrolled: 1-line block ×3, first 2 shown]
	v_mov_b32_e32 v95, v88
	global_load_dwordx4 v[86:89], v[86:87], off
	v_mov_b32_e32 v99, v92
	global_load_dwordx4 v[90:93], v[90:91], off
	s_waitcnt vmcnt(9)
	v_mad_u64_u32 v[96:97], null, 0xb50, s1, v[53:54]
	v_mov_b32_e32 v53, v96
	s_clause 0x2
	global_load_dwordx4 v[94:97], v[94:95], off
	global_load_dwordx4 v[98:101], v[98:99], off
	;; [unrolled: 1-line block ×3, first 2 shown]
	s_clause 0xc
	s_load_dwordx4 s[56:59], s[34:35], 0xd0
	s_load_dwordx4 s[52:55], s[34:35], 0x1b0
	;; [unrolled: 1-line block ×13, first 2 shown]
	s_waitcnt lgkmcnt(0)
	v_mul_f64 v[52:53], v[56:57], s[58:59]
	v_mul_f64 v[106:107], v[54:55], s[58:59]
	s_waitcnt vmcnt(11)
	v_mul_f64 v[108:109], v[60:61], s[54:55]
	v_mul_f64 v[110:111], v[58:59], s[54:55]
	s_waitcnt vmcnt(10)
	;; [unrolled: 3-line block ×4, first 2 shown]
	v_mul_f64 v[120:121], v[72:73], s[30:31]
	v_mul_f64 v[122:123], v[70:71], s[30:31]
	v_fma_f64 v[52:53], v[54:55], s[56:57], v[52:53]
	v_fma_f64 v[54:55], v[56:57], s[56:57], -v[106:107]
	v_fma_f64 v[56:57], v[58:59], s[52:53], v[108:109]
	v_fma_f64 v[58:59], v[60:61], s[52:53], -v[110:111]
	;; [unrolled: 2-line block ×5, first 2 shown]
	s_waitcnt vmcnt(7)
	v_mul_f64 v[124:125], v[76:77], s[38:39]
	v_mul_f64 v[126:127], v[74:75], s[38:39]
	s_waitcnt vmcnt(6)
	v_mul_f64 v[128:129], v[80:81], s[42:43]
	v_mul_f64 v[130:131], v[78:79], s[42:43]
	;; [unrolled: 3-line block ×5, first 2 shown]
	v_fma_f64 v[72:73], v[74:75], s[36:37], v[124:125]
	v_fma_f64 v[74:75], v[76:77], s[36:37], -v[126:127]
	v_fma_f64 v[76:77], v[78:79], s[40:41], v[128:129]
	v_fma_f64 v[78:79], v[80:81], s[40:41], -v[130:131]
	;; [unrolled: 2-line block ×5, first 2 shown]
	s_waitcnt vmcnt(2)
	v_mul_f64 v[144:145], v[96:97], s[14:15]
	v_mul_f64 v[146:147], v[94:95], s[14:15]
	s_waitcnt vmcnt(1)
	v_mul_f64 v[148:149], v[100:101], s[2:3]
	v_mul_f64 v[150:151], v[98:99], s[2:3]
	;; [unrolled: 3-line block ×3, first 2 shown]
	v_fma_f64 v[92:93], v[94:95], s[12:13], v[144:145]
	v_fma_f64 v[94:95], v[96:97], s[12:13], -v[146:147]
	v_fma_f64 v[96:97], v[98:99], s[0:1], v[148:149]
	v_fma_f64 v[98:99], v[100:101], s[0:1], -v[150:151]
	v_fma_f64 v[100:101], v[102:103], s[60:61], v[152:153]
	v_fma_f64 v[102:103], v[104:105], s[60:61], -v[154:155]
	ds_write_b128 v245, v[52:55] offset:208
	ds_write_b128 v245, v[56:59] offset:432
	;; [unrolled: 1-line block ×13, first 2 shown]
.LBB0_3:
	s_or_b32 exec_lo, exec_lo, s6
	s_waitcnt lgkmcnt(0)
	s_waitcnt_vscnt null, 0x0
	s_barrier
	buffer_gl0_inv
	ds_read_b128 v[96:99], v248
	ds_read_b128 v[152:155], v248 offset:224
	ds_read_b128 v[116:119], v248 offset:448
	;; [unrolled: 1-line block ×12, first 2 shown]
	s_load_dwordx2 s[0:1], s[4:5], 0x8
                                        ; implicit-def: $vgpr52_vgpr53
                                        ; implicit-def: $vgpr60_vgpr61
                                        ; implicit-def: $vgpr64_vgpr65
                                        ; implicit-def: $vgpr68_vgpr69
                                        ; implicit-def: $vgpr72_vgpr73
                                        ; implicit-def: $vgpr120_vgpr121
                                        ; implicit-def: $vgpr124_vgpr125
                                        ; implicit-def: $vgpr128_vgpr129
                                        ; implicit-def: $vgpr132_vgpr133
                                        ; implicit-def: $vgpr136_vgpr137
                                        ; implicit-def: $vgpr140_vgpr141
                                        ; implicit-def: $vgpr144_vgpr145
                                        ; implicit-def: $vgpr148_vgpr149
	s_and_saveexec_b32 s2, vcc_lo
	s_cbranch_execz .LBB0_5
; %bb.4:
	ds_read_b128 v[52:55], v245 offset:208
	ds_read_b128 v[60:63], v245 offset:432
	;; [unrolled: 1-line block ×13, first 2 shown]
.LBB0_5:
	s_or_b32 exec_lo, exec_lo, s2
	s_waitcnt lgkmcnt(0)
	v_add_f64 v[160:161], v[96:97], v[152:153]
	v_add_f64 v[162:163], v[98:99], v[154:155]
	;; [unrolled: 1-line block ×3, first 2 shown]
	v_add_f64 v[176:177], v[108:109], -v[104:105]
	v_add_f64 v[174:175], v[110:111], v[106:107]
	v_add_f64 v[178:179], v[110:111], -v[106:107]
	v_add_f64 v[156:157], v[152:153], v[88:89]
	v_add_f64 v[158:159], v[154:155], v[90:91]
	v_add_f64 v[152:153], v[152:153], -v[88:89]
	v_add_f64 v[154:155], v[154:155], -v[90:91]
	s_mov_b32 s40, 0x4267c47c
	s_mov_b32 s26, 0x42a4c3d2
	;; [unrolled: 1-line block ×8, first 2 shown]
	v_add_f64 v[164:165], v[116:117], v[92:93]
	v_add_f64 v[166:167], v[118:119], v[94:95]
	s_mov_b32 s2, 0xe00740e9
	s_mov_b32 s4, 0x1ea71119
	v_add_f64 v[160:161], v[160:161], v[116:117]
	v_add_f64 v[162:163], v[162:163], v[118:119]
	v_add_f64 v[116:117], v[116:117], -v[92:93]
	v_add_f64 v[118:119], v[118:119], -v[94:95]
	s_mov_b32 s6, 0xebaa3ed8
	s_mov_b32 s12, 0xb2365da1
	;; [unrolled: 1-line block ×4, first 2 shown]
	v_mul_f64 v[182:183], v[152:153], s[40:41]
	v_mul_f64 v[180:181], v[154:155], s[40:41]
	;; [unrolled: 1-line block ×6, first 2 shown]
	s_mov_b32 s3, 0x3fec55a7
	s_mov_b32 s5, 0x3fe22d96
	;; [unrolled: 1-line block ×8, first 2 shown]
	v_add_f64 v[160:161], v[160:161], v[112:113]
	v_add_f64 v[162:163], v[162:163], v[114:115]
	s_mov_b32 s29, 0x3fddbe06
	s_mov_b32 s36, s20
	;; [unrolled: 1-line block ×4, first 2 shown]
	v_add_f64 v[168:169], v[112:113], v[100:101]
	v_add_f64 v[170:171], v[114:115], v[102:103]
	v_add_f64 v[112:113], v[112:113], -v[100:101]
	v_add_f64 v[114:115], v[114:115], -v[102:103]
	v_mul_f64 v[192:193], v[154:155], s[20:21]
	v_mul_f64 v[194:195], v[152:153], s[20:21]
	;; [unrolled: 1-line block ×12, first 2 shown]
	v_add_f64 v[108:109], v[160:161], v[108:109]
	v_add_f64 v[110:111], v[162:163], v[110:111]
	v_mul_f64 v[162:163], v[154:155], s[16:17]
	v_mul_f64 v[160:161], v[152:153], s[30:31]
	;; [unrolled: 1-line block ×4, first 2 shown]
	v_fma_f64 v[251:252], v[156:157], s[2:3], -v[180:181]
	v_fma_f64 v[253:254], v[158:159], s[2:3], v[182:183]
	v_fma_f64 v[180:181], v[156:157], s[2:3], v[180:181]
	v_fma_f64 v[246:247], v[156:157], s[4:5], -v[184:185]
	v_fma_f64 v[0:1], v[158:159], s[4:5], v[186:187]
	v_fma_f64 v[6:7], v[156:157], s[6:7], v[188:189]
	;; [unrolled: 1-line block ×3, first 2 shown]
	s_mov_b32 s14, 0xd0032e0c
	s_mov_b32 s18, 0x93053d00
	;; [unrolled: 1-line block ×6, first 2 shown]
	v_mul_f64 v[216:217], v[116:117], s[22:23]
	v_mul_f64 v[116:117], v[116:117], s[28:29]
	;; [unrolled: 1-line block ×3, first 2 shown]
	v_add_f64 v[108:109], v[108:109], v[80:81]
	v_add_f64 v[110:111], v[110:111], v[82:83]
	v_fma_f64 v[10:11], v[156:157], s[12:13], v[162:163]
	v_mul_f64 v[220:221], v[112:113], s[30:31]
	v_mul_f64 v[222:223], v[114:115], s[24:25]
	;; [unrolled: 1-line block ×6, first 2 shown]
	v_fma_f64 v[182:183], v[158:159], s[2:3], -v[182:183]
	v_fma_f64 v[2:3], v[156:157], s[4:5], v[184:185]
	v_fma_f64 v[184:185], v[158:159], s[4:5], -v[186:187]
	v_fma_f64 v[186:187], v[156:157], s[6:7], -v[188:189]
	v_fma_f64 v[4:5], v[158:159], s[6:7], v[160:161]
	v_fma_f64 v[160:161], v[158:159], s[6:7], -v[160:161]
	v_fma_f64 v[188:189], v[156:157], s[12:13], -v[162:163]
	;; [unrolled: 1-line block ×4, first 2 shown]
	v_fma_f64 v[12:13], v[158:159], s[14:15], v[194:195]
	v_fma_f64 v[14:15], v[156:157], s[14:15], v[192:193]
	v_fma_f64 v[192:193], v[158:159], s[14:15], -v[194:195]
	v_fma_f64 v[194:195], v[156:157], s[18:19], -v[154:155]
	v_add_f64 v[108:109], v[108:109], v[56:57]
	v_add_f64 v[110:111], v[110:111], v[58:59]
	v_fma_f64 v[16:17], v[158:159], s[18:19], v[152:153]
	v_fma_f64 v[18:19], v[156:157], s[18:19], v[154:155]
	v_fma_f64 v[152:153], v[158:159], s[18:19], -v[152:153]
	v_fma_f64 v[154:155], v[164:165], s[4:5], -v[196:197]
	v_fma_f64 v[156:157], v[166:167], s[4:5], v[198:199]
	v_fma_f64 v[158:159], v[164:165], s[4:5], v[196:197]
	v_fma_f64 v[196:197], v[166:167], s[4:5], -v[198:199]
	v_fma_f64 v[198:199], v[164:165], s[12:13], -v[200:201]
	;; [unrolled: 4-line block ×4, first 2 shown]
	v_fma_f64 v[210:211], v[164:165], s[14:15], v[210:211]
	v_fma_f64 v[28:29], v[164:165], s[6:7], -v[214:215]
	v_fma_f64 v[30:31], v[164:165], s[6:7], v[214:215]
	v_fma_f64 v[214:215], v[164:165], s[2:3], -v[118:119]
	v_add_f64 v[108:109], v[108:109], v[76:77]
	v_add_f64 v[110:111], v[110:111], v[78:79]
	v_fma_f64 v[118:119], v[164:165], s[2:3], v[118:119]
	v_fma_f64 v[164:165], v[166:167], s[14:15], v[212:213]
	v_add_f64 v[251:252], v[96:97], v[251:252]
	v_add_f64 v[253:254], v[98:99], v[253:254]
	;; [unrolled: 1-line block ×8, first 2 shown]
	v_mul_f64 v[228:229], v[112:113], s[44:45]
	v_mul_f64 v[235:236], v[114:115], s[26:27]
	;; [unrolled: 1-line block ×9, first 2 shown]
	v_fma_f64 v[212:213], v[166:167], s[14:15], -v[212:213]
	v_add_f64 v[34:35], v[108:109], v[84:85]
	v_add_f64 v[108:109], v[110:111], v[86:87]
	v_fma_f64 v[32:33], v[166:167], s[6:7], v[216:217]
	v_fma_f64 v[110:111], v[166:167], s[6:7], -v[216:217]
	v_fma_f64 v[216:217], v[166:167], s[2:3], v[116:117]
	v_fma_f64 v[116:117], v[166:167], s[2:3], -v[116:117]
	v_fma_f64 v[166:167], v[168:169], s[6:7], -v[218:219]
	v_fma_f64 v[36:37], v[170:171], s[6:7], v[220:221]
	v_fma_f64 v[38:39], v[168:169], s[6:7], v[218:219]
	v_fma_f64 v[218:219], v[170:171], s[6:7], -v[220:221]
	v_fma_f64 v[220:221], v[168:169], s[18:19], -v[222:223]
	v_fma_f64 v[40:41], v[170:171], s[18:19], v[224:225]
	v_fma_f64 v[46:47], v[168:169], s[12:13], v[226:227]
	;; [unrolled: 1-line block ×4, first 2 shown]
	v_add_f64 v[182:183], v[98:99], v[182:183]
	v_add_f64 v[2:3], v[96:97], v[2:3]
	;; [unrolled: 1-line block ×19, first 2 shown]
	v_fma_f64 v[42:43], v[168:169], s[18:19], v[222:223]
	v_fma_f64 v[222:223], v[170:171], s[18:19], -v[224:225]
	v_fma_f64 v[224:225], v[168:169], s[12:13], -v[226:227]
	v_fma_f64 v[44:45], v[170:171], s[12:13], v[228:229]
	v_fma_f64 v[226:227], v[170:171], s[12:13], -v[228:229]
	v_fma_f64 v[228:229], v[168:169], s[2:3], -v[230:231]
	;; [unrolled: 1-line block ×4, first 2 shown]
	v_fma_f64 v[106:107], v[170:171], s[4:5], v[237:238]
	v_fma_f64 v[108:109], v[168:169], s[4:5], v[235:236]
	v_add_f64 v[34:35], v[34:35], v[100:101]
	v_add_f64 v[100:101], v[104:105], v[102:103]
	;; [unrolled: 1-line block ×9, first 2 shown]
	v_fma_f64 v[235:236], v[170:171], s[4:5], -v[237:238]
	v_fma_f64 v[237:238], v[168:169], s[14:15], -v[114:115]
	v_fma_f64 v[114:115], v[168:169], s[14:15], v[114:115]
	v_fma_f64 v[168:169], v[170:171], s[14:15], v[112:113]
	v_fma_f64 v[112:113], v[170:171], s[14:15], -v[112:113]
	v_add_f64 v[156:157], v[196:197], v[182:183]
	v_add_f64 v[2:3], v[22:23], v[2:3]
	;; [unrolled: 1-line block ×7, first 2 shown]
	v_fma_f64 v[40:41], v[172:173], s[12:13], v[239:240]
	v_add_f64 v[34:35], v[34:35], v[92:93]
	v_add_f64 v[92:93], v[100:101], v[94:95]
	;; [unrolled: 1-line block ×10, first 2 shown]
	v_mul_f64 v[46:47], v[178:179], s[28:29]
	v_mul_f64 v[48:49], v[176:177], s[28:29]
	v_fma_f64 v[50:51], v[172:173], s[14:15], -v[243:244]
	s_mov_b32 s39, 0x3fea55e2
	s_mov_b32 s38, s26
	v_fma_f64 v[170:171], v[172:173], s[12:13], -v[239:240]
	v_add_f64 v[20:21], v[200:201], v[184:185]
	v_add_f64 v[24:25], v[206:207], v[160:161]
	;; [unrolled: 1-line block ×7, first 2 shown]
	v_fma_f64 v[34:35], v[174:175], s[12:13], v[241:242]
	v_fma_f64 v[88:89], v[174:175], s[14:15], v[249:250]
	v_add_f64 v[100:101], v[218:219], v[156:157]
	v_add_f64 v[2:3], v[42:43], v[2:3]
	;; [unrolled: 1-line block ×6, first 2 shown]
	v_fma_f64 v[44:45], v[174:175], s[12:13], -v[241:242]
	v_add_f64 v[14:15], v[108:109], v[14:15]
	v_add_f64 v[90:91], v[112:113], v[96:97]
	v_mul_f64 v[94:95], v[176:177], s[30:31]
	v_add_f64 v[38:39], v[40:41], v[38:39]
	v_add_f64 v[40:41], v[82:83], -v[86:87]
	v_add_f64 v[96:97], v[80:81], -v[84:85]
	v_fma_f64 v[108:109], v[172:173], s[2:3], -v[46:47]
	v_fma_f64 v[110:111], v[174:175], s[2:3], v[48:49]
	v_add_f64 v[50:51], v[50:51], v[102:103]
	v_mul_f64 v[102:103], v[176:177], s[38:39]
	s_mov_b32 s43, 0x3fcea1e5
	s_mov_b32 s42, s24
	v_add_f64 v[26:27], v[208:209], v[188:189]
	v_add_f64 v[34:35], v[34:35], v[36:37]
	v_mul_f64 v[36:37], v[178:179], s[30:31]
	v_add_f64 v[0:1], v[88:89], v[0:1]
	v_mul_f64 v[88:89], v[178:179], s[38:39]
	v_add_f64 v[16:17], v[216:217], v[16:17]
	v_add_f64 v[20:21], v[222:223], v[20:21]
	;; [unrolled: 1-line block ×8, first 2 shown]
	v_mul_f64 v[98:99], v[178:179], s[42:43]
	v_mul_f64 v[100:101], v[176:177], s[42:43]
	v_fma_f64 v[104:105], v[172:173], s[14:15], v[243:244]
	v_fma_f64 v[106:107], v[174:175], s[14:15], -v[249:250]
	v_fma_f64 v[46:47], v[172:173], s[2:3], v[46:47]
	v_fma_f64 v[48:49], v[174:175], s[2:3], -v[48:49]
	v_fma_f64 v[114:115], v[174:175], s[6:7], v[94:95]
	v_add_f64 v[80:81], v[80:81], v[84:85]
	v_add_f64 v[82:83], v[82:83], v[86:87]
	v_mul_f64 v[84:85], v[40:41], s[20:21]
	v_mul_f64 v[86:87], v[96:97], s[20:21]
	v_fma_f64 v[112:113], v[172:173], s[6:7], -v[36:37]
	v_fma_f64 v[36:37], v[172:173], s[6:7], v[36:37]
	v_fma_f64 v[94:95], v[174:175], s[6:7], -v[94:95]
	v_add_f64 v[22:23], v[108:109], v[22:23]
	v_add_f64 v[4:5], v[110:111], v[4:5]
	v_fma_f64 v[108:109], v[172:173], s[4:5], -v[88:89]
	v_fma_f64 v[110:111], v[174:175], s[4:5], v[102:103]
	v_fma_f64 v[88:89], v[172:173], s[4:5], v[88:89]
	v_fma_f64 v[102:103], v[174:175], s[4:5], -v[102:103]
	v_add_f64 v[26:27], v[228:229], v[26:27]
	v_add_f64 v[30:31], v[235:236], v[30:31]
	;; [unrolled: 1-line block ×3, first 2 shown]
	v_fma_f64 v[116:117], v[172:173], s[18:19], -v[98:99]
	v_fma_f64 v[118:119], v[174:175], s[18:19], v[100:101]
	v_add_f64 v[2:3], v[104:105], v[2:3]
	v_add_f64 v[20:21], v[106:107], v[20:21]
	v_fma_f64 v[98:99], v[172:173], s[18:19], v[98:99]
	v_fma_f64 v[100:101], v[174:175], s[18:19], -v[100:101]
	v_mul_f64 v[104:105], v[40:41], s[22:23]
	v_mul_f64 v[106:107], v[96:97], s[22:23]
	v_add_f64 v[6:7], v[46:47], v[6:7]
	v_add_f64 v[24:25], v[48:49], v[24:25]
	v_fma_f64 v[46:47], v[80:81], s[14:15], -v[84:85]
	v_fma_f64 v[48:49], v[82:83], s[14:15], v[86:87]
	v_add_f64 v[10:11], v[36:37], v[10:11]
	v_add_f64 v[36:37], v[94:95], v[42:43]
	v_mul_f64 v[42:43], v[40:41], s[26:27]
	v_mul_f64 v[94:95], v[96:97], s[26:27]
	v_fma_f64 v[84:85], v[80:81], s[14:15], v[84:85]
	v_fma_f64 v[86:87], v[82:83], s[14:15], -v[86:87]
	v_add_f64 v[32:33], v[108:109], v[32:33]
	v_add_f64 v[18:19], v[88:89], v[18:19]
	v_add_f64 v[88:89], v[102:103], v[90:91]
	v_add_f64 v[90:91], v[58:59], -v[78:79]
	v_add_f64 v[102:103], v[56:57], -v[76:77]
	v_mul_f64 v[108:109], v[40:41], s[42:43]
	v_add_f64 v[26:27], v[112:113], v[26:27]
	v_add_f64 v[8:9], v[114:115], v[8:9]
	;; [unrolled: 1-line block ×4, first 2 shown]
	v_fma_f64 v[98:99], v[80:81], s[6:7], -v[104:105]
	v_fma_f64 v[100:101], v[82:83], s[6:7], v[106:107]
	v_add_f64 v[16:17], v[110:111], v[16:17]
	v_mul_f64 v[110:111], v[96:97], s[42:43]
	v_add_f64 v[46:47], v[46:47], v[92:93]
	v_add_f64 v[34:35], v[48:49], v[34:35]
	v_mul_f64 v[48:49], v[40:41], s[28:29]
	v_mul_f64 v[92:93], v[96:97], s[28:29]
	v_fma_f64 v[104:105], v[80:81], s[6:7], v[104:105]
	v_fma_f64 v[106:107], v[82:83], s[6:7], -v[106:107]
	v_fma_f64 v[112:113], v[80:81], s[4:5], -v[42:43]
	v_fma_f64 v[114:115], v[82:83], s[4:5], v[94:95]
	v_add_f64 v[38:39], v[84:85], v[38:39]
	v_add_f64 v[44:45], v[86:87], v[44:45]
	v_fma_f64 v[42:43], v[80:81], s[4:5], v[42:43]
	v_fma_f64 v[84:85], v[82:83], s[4:5], -v[94:95]
	v_mul_f64 v[40:41], v[40:41], s[16:17]
	v_mul_f64 v[86:87], v[96:97], s[16:17]
	v_add_f64 v[56:57], v[56:57], v[76:77]
	v_add_f64 v[58:59], v[58:59], v[78:79]
	v_mul_f64 v[76:77], v[90:91], s[24:25]
	v_mul_f64 v[78:79], v[102:103], s[24:25]
	v_fma_f64 v[94:95], v[80:81], s[18:19], -v[108:109]
	v_add_f64 v[50:51], v[98:99], v[50:51]
	v_add_f64 v[0:1], v[100:101], v[0:1]
	v_fma_f64 v[96:97], v[82:83], s[18:19], v[110:111]
	v_fma_f64 v[98:99], v[80:81], s[18:19], v[108:109]
	v_fma_f64 v[100:101], v[82:83], s[18:19], -v[110:111]
	v_fma_f64 v[108:109], v[80:81], s[2:3], -v[48:49]
	v_fma_f64 v[110:111], v[82:83], s[2:3], v[92:93]
	v_add_f64 v[2:3], v[104:105], v[2:3]
	v_add_f64 v[20:21], v[106:107], v[20:21]
	v_fma_f64 v[48:49], v[80:81], s[2:3], v[48:49]
	v_fma_f64 v[92:93], v[82:83], s[2:3], -v[92:93]
	v_add_f64 v[28:29], v[28:29], v[190:191]
	v_add_f64 v[12:13], v[118:119], v[12:13]
	;; [unrolled: 1-line block ×4, first 2 shown]
	v_mul_f64 v[42:43], v[90:91], s[28:29]
	v_mul_f64 v[84:85], v[102:103], s[28:29]
	v_fma_f64 v[104:105], v[80:81], s[12:13], -v[40:41]
	v_fma_f64 v[106:107], v[82:83], s[12:13], v[86:87]
	v_fma_f64 v[40:41], v[80:81], s[12:13], v[40:41]
	v_fma_f64 v[80:81], v[82:83], s[12:13], -v[86:87]
	v_fma_f64 v[82:83], v[56:57], s[18:19], -v[76:77]
	v_fma_f64 v[86:87], v[58:59], s[18:19], v[78:79]
	v_add_f64 v[26:27], v[94:95], v[26:27]
	v_mul_f64 v[94:95], v[90:91], s[20:21]
	v_add_f64 v[22:23], v[112:113], v[22:23]
	v_add_f64 v[8:9], v[96:97], v[8:9]
	;; [unrolled: 1-line block ×4, first 2 shown]
	v_fma_f64 v[76:77], v[56:57], s[18:19], v[76:77]
	v_fma_f64 v[78:79], v[58:59], s[18:19], -v[78:79]
	v_mul_f64 v[96:97], v[102:103], s[20:21]
	v_add_f64 v[14:15], v[48:49], v[14:15]
	v_add_f64 v[30:31], v[92:93], v[30:31]
	v_mul_f64 v[48:49], v[90:91], s[38:39]
	v_mul_f64 v[92:93], v[102:103], s[38:39]
	v_add_f64 v[28:29], v[233:234], v[28:29]
	v_fma_f64 v[98:99], v[56:57], s[2:3], -v[42:43]
	v_fma_f64 v[100:101], v[58:59], s[2:3], v[84:85]
	v_add_f64 v[4:5], v[114:115], v[4:5]
	v_add_f64 v[12:13], v[110:111], v[12:13]
	;; [unrolled: 1-line block ×6, first 2 shown]
	v_add_f64 v[46:47], v[60:61], -v[148:149]
	v_fma_f64 v[80:81], v[58:59], s[2:3], -v[84:85]
	v_mul_f64 v[82:83], v[90:91], s[16:17]
	v_mul_f64 v[84:85], v[102:103], s[16:17]
	v_fma_f64 v[86:87], v[56:57], s[14:15], -v[94:95]
	v_add_f64 v[34:35], v[62:63], -v[150:151]
	v_add_f64 v[160:161], v[76:77], v[38:39]
	v_add_f64 v[162:163], v[78:79], v[44:45]
	v_fma_f64 v[38:39], v[58:59], s[14:15], v[96:97]
	v_fma_f64 v[44:45], v[56:57], s[14:15], v[94:95]
	v_add_f64 v[94:95], v[62:63], v[150:151]
	v_fma_f64 v[78:79], v[56:57], s[4:5], -v[48:49]
	v_fma_f64 v[88:89], v[58:59], s[4:5], v[92:93]
	v_fma_f64 v[48:49], v[56:57], s[4:5], v[48:49]
	v_add_f64 v[172:173], v[98:99], v[50:51]
	v_add_f64 v[174:175], v[100:101], v[0:1]
	v_mul_f64 v[0:1], v[90:91], s[22:23]
	v_mul_f64 v[50:51], v[102:103], s[22:23]
	v_fma_f64 v[90:91], v[58:59], s[4:5], -v[92:93]
	v_add_f64 v[28:29], v[116:117], v[28:29]
	v_add_f64 v[32:33], v[104:105], v[32:33]
	v_fma_f64 v[42:43], v[56:57], s[2:3], v[42:43]
	v_mul_f64 v[98:99], v[46:47], s[40:41]
	v_add_f64 v[166:167], v[80:81], v[20:21]
	v_fma_f64 v[76:77], v[58:59], s[14:15], -v[96:97]
	v_fma_f64 v[20:21], v[58:59], s[12:13], v[84:85]
	v_add_f64 v[180:181], v[86:87], v[22:23]
	v_fma_f64 v[22:23], v[56:57], s[12:13], v[82:83]
	v_add_f64 v[92:93], v[60:61], v[148:149]
	v_mul_f64 v[96:97], v[34:35], s[40:41]
	v_add_f64 v[182:183], v[38:39], v[4:5]
	v_mul_f64 v[38:39], v[34:35], s[30:31]
	v_add_f64 v[16:17], v[106:107], v[16:17]
	v_add_f64 v[168:169], v[44:45], v[6:7]
	v_add_f64 v[186:187], v[88:89], v[8:9]
	v_add_f64 v[176:177], v[48:49], v[10:11]
	v_add_f64 v[184:185], v[78:79], v[26:27]
	v_mul_f64 v[4:5], v[34:35], s[26:27]
	v_fma_f64 v[8:9], v[56:57], s[6:7], -v[0:1]
	v_fma_f64 v[0:1], v[56:57], s[6:7], v[0:1]
	v_fma_f64 v[10:11], v[58:59], s[6:7], -v[50:51]
	v_add_f64 v[178:179], v[90:91], v[36:37]
	v_add_f64 v[28:29], v[108:109], v[28:29]
	;; [unrolled: 1-line block ×3, first 2 shown]
	v_fma_f64 v[36:37], v[94:95], s[2:3], v[98:99]
	v_fma_f64 v[2:3], v[56:57], s[12:13], -v[82:83]
	v_fma_f64 v[42:43], v[58:59], s[12:13], -v[84:85]
	v_add_f64 v[194:195], v[20:21], v[12:13]
	v_add_f64 v[12:13], v[66:67], -v[146:147]
	v_add_f64 v[188:189], v[22:23], v[14:15]
	v_add_f64 v[14:15], v[64:65], -v[144:145]
	v_add_f64 v[170:171], v[76:77], v[24:25]
	v_mul_f64 v[6:7], v[46:47], s[26:27]
	v_fma_f64 v[24:25], v[58:59], s[6:7], v[50:51]
	v_fma_f64 v[26:27], v[92:93], s[2:3], -v[96:97]
	v_mul_f64 v[44:45], v[46:47], s[30:31]
	v_fma_f64 v[20:21], v[92:93], s[2:3], v[96:97]
	v_fma_f64 v[22:23], v[94:95], s[2:3], -v[98:99]
	v_mul_f64 v[48:49], v[34:35], s[20:21]
	v_mul_f64 v[50:51], v[46:47], s[20:21]
	v_add_f64 v[200:201], v[8:9], v[32:33]
	v_add_f64 v[196:197], v[0:1], v[18:19]
	;; [unrolled: 1-line block ×3, first 2 shown]
	v_fma_f64 v[10:11], v[92:93], s[6:7], -v[38:39]
	v_fma_f64 v[18:19], v[92:93], s[6:7], v[38:39]
	v_add_f64 v[32:33], v[64:65], v[144:145]
	v_add_f64 v[8:9], v[54:55], v[36:37]
	;; [unrolled: 1-line block ×4, first 2 shown]
	v_mul_f64 v[2:3], v[34:35], s[16:17]
	v_mul_f64 v[38:39], v[12:13], s[26:27]
	v_add_f64 v[190:191], v[42:43], v[30:31]
	v_mul_f64 v[40:41], v[14:15], s[26:27]
	v_mul_f64 v[28:29], v[46:47], s[16:17]
	v_fma_f64 v[30:31], v[92:93], s[4:5], -v[4:5]
	v_fma_f64 v[42:43], v[94:95], s[4:5], v[6:7]
	v_add_f64 v[202:203], v[24:25], v[16:17]
	v_fma_f64 v[4:5], v[92:93], s[4:5], v[4:5]
	v_fma_f64 v[0:1], v[94:95], s[4:5], -v[6:7]
	v_add_f64 v[6:7], v[52:53], v[26:27]
	v_fma_f64 v[16:17], v[94:95], s[6:7], v[44:45]
	v_fma_f64 v[24:25], v[94:95], s[6:7], -v[44:45]
	v_add_f64 v[20:21], v[52:53], v[20:21]
	v_add_f64 v[22:23], v[54:55], v[22:23]
	v_mul_f64 v[56:57], v[12:13], s[16:17]
	v_mul_f64 v[58:59], v[14:15], s[16:17]
	;; [unrolled: 1-line block ×6, first 2 shown]
	v_add_f64 v[10:11], v[52:53], v[10:11]
	v_fma_f64 v[26:27], v[92:93], s[12:13], -v[2:3]
	v_fma_f64 v[76:77], v[32:33], s[4:5], -v[38:39]
	v_fma_f64 v[38:39], v[32:33], s[4:5], v[38:39]
	v_fma_f64 v[78:79], v[36:37], s[4:5], v[40:41]
	v_fma_f64 v[40:41], v[36:37], s[4:5], -v[40:41]
	v_fma_f64 v[44:45], v[94:95], s[12:13], v[28:29]
	v_add_f64 v[30:31], v[52:53], v[30:31]
	v_add_f64 v[42:43], v[54:55], v[42:43]
	v_fma_f64 v[2:3], v[92:93], s[12:13], v[2:3]
	v_fma_f64 v[28:29], v[94:95], s[12:13], -v[28:29]
	v_add_f64 v[4:5], v[52:53], v[4:5]
	v_add_f64 v[0:1], v[54:55], v[0:1]
	;; [unrolled: 1-line block ×5, first 2 shown]
	v_mul_f64 v[84:85], v[12:13], s[36:37]
	v_fma_f64 v[86:87], v[92:93], s[14:15], -v[48:49]
	v_fma_f64 v[88:89], v[94:95], s[14:15], v[50:51]
	v_fma_f64 v[48:49], v[92:93], s[14:15], v[48:49]
	v_fma_f64 v[90:91], v[32:33], s[12:13], -v[56:57]
	v_fma_f64 v[96:97], v[36:37], s[12:13], v[58:59]
	v_fma_f64 v[50:51], v[94:95], s[14:15], -v[50:51]
	v_fma_f64 v[98:99], v[92:93], s[18:19], -v[34:35]
	v_fma_f64 v[34:35], v[92:93], s[18:19], v[34:35]
	v_fma_f64 v[56:57], v[32:33], s[12:13], v[56:57]
	v_mul_f64 v[92:93], v[14:15], s[36:37]
	v_fma_f64 v[100:101], v[94:95], s[18:19], v[46:47]
	v_fma_f64 v[46:47], v[94:95], s[18:19], -v[46:47]
	v_add_f64 v[6:7], v[76:77], v[6:7]
	v_add_f64 v[8:9], v[78:79], v[8:9]
	;; [unrolled: 1-line block ×4, first 2 shown]
	v_fma_f64 v[38:39], v[36:37], s[12:13], -v[58:59]
	v_fma_f64 v[40:41], v[32:33], s[18:19], -v[80:81]
	v_fma_f64 v[58:59], v[36:37], s[18:19], v[82:83]
	v_mul_f64 v[76:77], v[12:13], s[22:23]
	v_mul_f64 v[78:79], v[14:15], s[22:23]
	v_fma_f64 v[80:81], v[32:33], s[18:19], v[80:81]
	v_fma_f64 v[82:83], v[36:37], s[18:19], -v[82:83]
	v_add_f64 v[94:95], v[70:71], -v[142:143]
	v_add_f64 v[102:103], v[68:69], -v[140:141]
	v_mul_f64 v[12:13], v[12:13], s[28:29]
	v_mul_f64 v[14:15], v[14:15], s[28:29]
	v_add_f64 v[44:45], v[54:55], v[44:45]
	v_add_f64 v[2:3], v[52:53], v[2:3]
	;; [unrolled: 1-line block ×3, first 2 shown]
	v_fma_f64 v[104:105], v[32:33], s[14:15], -v[84:85]
	v_add_f64 v[86:87], v[52:53], v[86:87]
	v_add_f64 v[30:31], v[90:91], v[30:31]
	;; [unrolled: 1-line block ×5, first 2 shown]
	v_fma_f64 v[56:57], v[36:37], s[14:15], v[92:93]
	v_fma_f64 v[84:85], v[32:33], s[14:15], v[84:85]
	v_fma_f64 v[90:91], v[36:37], s[14:15], -v[92:93]
	v_add_f64 v[48:49], v[52:53], v[48:49]
	v_add_f64 v[50:51], v[54:55], v[50:51]
	;; [unrolled: 1-line block ×5, first 2 shown]
	v_fma_f64 v[38:39], v[32:33], s[6:7], -v[76:77]
	v_fma_f64 v[40:41], v[36:37], s[6:7], v[78:79]
	v_add_f64 v[58:59], v[68:69], v[140:141]
	v_add_f64 v[92:93], v[70:71], v[142:143]
	v_mul_f64 v[96:97], v[94:95], s[30:31]
	v_mul_f64 v[106:107], v[102:103], s[30:31]
	v_add_f64 v[18:19], v[80:81], v[18:19]
	v_add_f64 v[24:25], v[82:83], v[24:25]
	v_fma_f64 v[76:77], v[32:33], s[6:7], v[76:77]
	v_add_f64 v[80:81], v[52:53], v[98:99]
	v_add_f64 v[82:83], v[54:55], v[100:101]
	v_fma_f64 v[78:79], v[36:37], s[6:7], -v[78:79]
	v_fma_f64 v[98:99], v[32:33], s[2:3], -v[12:13]
	v_fma_f64 v[100:101], v[36:37], s[2:3], v[14:15]
	v_fma_f64 v[12:13], v[32:33], s[2:3], v[12:13]
	v_mul_f64 v[32:33], v[94:95], s[24:25]
	v_add_f64 v[46:47], v[54:55], v[46:47]
	v_fma_f64 v[14:15], v[36:37], s[2:3], -v[14:15]
	v_add_f64 v[26:27], v[52:53], v[26:27]
	v_mul_f64 v[108:109], v[102:103], s[24:25]
	v_add_f64 v[34:35], v[52:53], v[34:35]
	v_add_f64 v[36:37], v[56:57], v[44:45]
	;; [unrolled: 1-line block ×6, first 2 shown]
	v_fma_f64 v[44:45], v[58:59], s[6:7], -v[96:97]
	v_fma_f64 v[56:57], v[92:93], s[6:7], v[106:107]
	v_mul_f64 v[84:85], v[94:95], s[44:45]
	v_mul_f64 v[86:87], v[102:103], s[44:45]
	v_fma_f64 v[88:89], v[58:59], s[6:7], v[96:97]
	v_fma_f64 v[90:91], v[92:93], s[6:7], -v[106:107]
	v_add_f64 v[48:49], v[76:77], v[48:49]
	v_add_f64 v[50:51], v[78:79], v[50:51]
	v_mul_f64 v[76:77], v[94:95], s[28:29]
	v_add_f64 v[78:79], v[98:99], v[80:81]
	v_add_f64 v[80:81], v[100:101], v[82:83]
	v_fma_f64 v[82:83], v[58:59], s[18:19], -v[32:33]
	v_mul_f64 v[98:99], v[102:103], s[28:29]
	v_add_f64 v[14:15], v[14:15], v[46:47]
	v_add_f64 v[46:47], v[74:75], -v[138:139]
	v_add_f64 v[26:27], v[104:105], v[26:27]
	v_fma_f64 v[96:97], v[92:93], s[18:19], v[108:109]
	v_add_f64 v[12:13], v[12:13], v[34:35]
	v_mul_f64 v[34:35], v[94:95], s[26:27]
	v_fma_f64 v[32:33], v[58:59], s[18:19], v[32:33]
	v_fma_f64 v[100:101], v[92:93], s[18:19], -v[108:109]
	v_add_f64 v[104:105], v[72:73], -v[136:137]
	v_mul_f64 v[106:107], v[102:103], s[26:27]
	v_add_f64 v[6:7], v[44:45], v[6:7]
	v_add_f64 v[8:9], v[56:57], v[8:9]
	v_fma_f64 v[44:45], v[58:59], s[12:13], -v[84:85]
	v_fma_f64 v[56:57], v[92:93], s[12:13], v[86:87]
	v_add_f64 v[20:21], v[88:89], v[20:21]
	v_add_f64 v[22:23], v[90:91], v[22:23]
	v_fma_f64 v[84:85], v[58:59], s[12:13], v[84:85]
	v_mul_f64 v[88:89], v[94:95], s[20:21]
	v_mul_f64 v[90:91], v[102:103], s[20:21]
	v_fma_f64 v[94:95], v[58:59], s[2:3], -v[76:77]
	v_add_f64 v[30:31], v[82:83], v[30:31]
	v_fma_f64 v[82:83], v[92:93], s[2:3], v[98:99]
	v_fma_f64 v[76:77], v[58:59], s[2:3], v[76:77]
	v_add_f64 v[102:103], v[72:73], v[136:137]
	v_mul_f64 v[108:109], v[46:47], s[16:17]
	v_fma_f64 v[86:87], v[92:93], s[12:13], -v[86:87]
	v_add_f64 v[42:43], v[96:97], v[42:43]
	v_fma_f64 v[96:97], v[92:93], s[2:3], -v[98:99]
	v_fma_f64 v[98:99], v[58:59], s[4:5], -v[34:35]
	v_add_f64 v[110:111], v[74:75], v[138:139]
	v_mul_f64 v[112:113], v[104:105], s[16:17]
	v_add_f64 v[4:5], v[32:33], v[4:5]
	v_add_f64 v[0:1], v[100:101], v[0:1]
	v_fma_f64 v[32:33], v[58:59], s[4:5], v[34:35]
	v_add_f64 v[10:11], v[44:45], v[10:11]
	v_add_f64 v[16:17], v[56:57], v[16:17]
	v_fma_f64 v[34:35], v[92:93], s[4:5], -v[106:107]
	v_mul_f64 v[56:57], v[46:47], s[36:37]
	v_add_f64 v[18:19], v[84:85], v[18:19]
	v_fma_f64 v[44:45], v[58:59], s[14:15], -v[88:89]
	v_fma_f64 v[84:85], v[92:93], s[14:15], v[90:91]
	v_mul_f64 v[100:101], v[104:105], s[36:37]
	v_fma_f64 v[114:115], v[92:93], s[4:5], v[106:107]
	v_add_f64 v[36:37], v[82:83], v[36:37]
	v_add_f64 v[2:3], v[76:77], v[2:3]
	v_fma_f64 v[76:77], v[92:93], s[14:15], -v[90:91]
	v_fma_f64 v[82:83], v[102:103], s[12:13], -v[108:109]
	v_add_f64 v[24:25], v[86:87], v[24:25]
	v_fma_f64 v[58:59], v[58:59], s[14:15], v[88:89]
	v_add_f64 v[26:27], v[94:95], v[26:27]
	v_mul_f64 v[88:89], v[46:47], s[28:29]
	v_fma_f64 v[90:91], v[102:103], s[12:13], v[108:109]
	v_fma_f64 v[86:87], v[110:111], s[12:13], v[112:113]
	v_fma_f64 v[92:93], v[110:111], s[12:13], -v[112:113]
	v_mul_f64 v[94:95], v[104:105], s[28:29]
	v_add_f64 v[32:33], v[32:33], v[48:49]
	v_mul_f64 v[48:49], v[46:47], s[30:31]
	v_add_f64 v[28:29], v[96:97], v[28:29]
	v_add_f64 v[34:35], v[34:35], v[50:51]
	v_fma_f64 v[50:51], v[102:103], s[14:15], -v[56:57]
	v_add_f64 v[38:39], v[98:99], v[38:39]
	v_add_f64 v[44:45], v[44:45], v[78:79]
	;; [unrolled: 1-line block ×3, first 2 shown]
	v_fma_f64 v[80:81], v[110:111], s[14:15], v[100:101]
	v_mul_f64 v[84:85], v[104:105], s[30:31]
	v_add_f64 v[40:41], v[114:115], v[40:41]
	v_fma_f64 v[56:57], v[102:103], s[14:15], v[56:57]
	v_add_f64 v[14:15], v[76:77], v[14:15]
	v_add_f64 v[76:77], v[122:123], -v[134:135]
	v_add_f64 v[6:7], v[82:83], v[6:7]
	v_add_f64 v[82:83], v[120:121], -v[132:133]
	v_add_f64 v[12:13], v[58:59], v[12:13]
	v_mul_f64 v[58:59], v[46:47], s[42:43]
	v_mul_f64 v[96:97], v[104:105], s[42:43]
	v_add_f64 v[8:9], v[86:87], v[8:9]
	v_fma_f64 v[86:87], v[110:111], s[14:15], -v[100:101]
	v_fma_f64 v[98:99], v[102:103], s[2:3], -v[88:89]
	v_add_f64 v[20:21], v[90:91], v[20:21]
	v_add_f64 v[22:23], v[92:93], v[22:23]
	v_fma_f64 v[90:91], v[110:111], s[2:3], v[94:95]
	v_mul_f64 v[46:47], v[46:47], s[38:39]
	v_fma_f64 v[88:89], v[102:103], s[2:3], v[88:89]
	v_fma_f64 v[92:93], v[110:111], s[2:3], -v[94:95]
	v_fma_f64 v[94:95], v[102:103], s[6:7], -v[48:49]
	v_mul_f64 v[100:101], v[104:105], s[38:39]
	v_add_f64 v[30:31], v[50:51], v[30:31]
	v_add_f64 v[42:43], v[80:81], v[42:43]
	v_fma_f64 v[50:51], v[110:111], s[6:7], v[84:85]
	v_fma_f64 v[48:49], v[102:103], s[6:7], v[48:49]
	v_fma_f64 v[80:81], v[110:111], s[6:7], -v[84:85]
	v_add_f64 v[106:107], v[120:121], v[132:133]
	v_mul_f64 v[108:109], v[76:77], s[20:21]
	v_add_f64 v[112:113], v[122:123], v[134:135]
	v_mul_f64 v[114:115], v[82:83], s[20:21]
	v_fma_f64 v[84:85], v[102:103], s[18:19], -v[58:59]
	v_add_f64 v[4:5], v[56:57], v[4:5]
	v_fma_f64 v[56:57], v[102:103], s[18:19], v[58:59]
	v_add_f64 v[0:1], v[86:87], v[0:1]
	v_fma_f64 v[58:59], v[110:111], s[18:19], -v[96:97]
	v_fma_f64 v[104:105], v[110:111], s[18:19], v[96:97]
	v_add_f64 v[10:11], v[98:99], v[10:11]
	v_add_f64 v[16:17], v[90:91], v[16:17]
	v_fma_f64 v[86:87], v[102:103], s[4:5], -v[46:47]
	v_add_f64 v[18:19], v[88:89], v[18:19]
	v_add_f64 v[24:25], v[92:93], v[24:25]
	v_mul_f64 v[88:89], v[76:77], s[22:23]
	v_mul_f64 v[92:93], v[82:83], s[22:23]
	v_add_f64 v[26:27], v[94:95], v[26:27]
	v_fma_f64 v[46:47], v[102:103], s[4:5], v[46:47]
	v_add_f64 v[36:37], v[50:51], v[36:37]
	v_add_f64 v[2:3], v[48:49], v[2:3]
	v_fma_f64 v[48:49], v[110:111], s[4:5], -v[100:101]
	v_add_f64 v[28:29], v[80:81], v[28:29]
	v_fma_f64 v[50:51], v[106:107], s[14:15], -v[108:109]
	v_mul_f64 v[94:95], v[76:77], s[26:27]
	v_fma_f64 v[80:81], v[112:113], s[14:15], v[114:115]
	v_fma_f64 v[90:91], v[110:111], s[4:5], v[100:101]
	v_add_f64 v[38:39], v[84:85], v[38:39]
	v_fma_f64 v[84:85], v[106:107], s[14:15], v[108:109]
	v_mul_f64 v[96:97], v[82:83], s[26:27]
	v_add_f64 v[32:33], v[56:57], v[32:33]
	v_add_f64 v[34:35], v[58:59], v[34:35]
	v_mul_f64 v[56:57], v[76:77], s[42:43]
	v_fma_f64 v[58:59], v[112:113], s[14:15], -v[114:115]
	v_add_f64 v[44:45], v[86:87], v[44:45]
	v_mul_f64 v[86:87], v[82:83], s[42:43]
	v_mul_f64 v[100:101], v[76:77], s[28:29]
	v_fma_f64 v[98:99], v[106:107], s[6:7], -v[88:89]
	v_add_f64 v[102:103], v[124:125], -v[128:129]
	v_mul_f64 v[76:77], v[76:77], s[16:17]
	v_add_f64 v[12:13], v[46:47], v[12:13]
	v_mul_f64 v[46:47], v[82:83], s[28:29]
	v_add_f64 v[40:41], v[104:105], v[40:41]
	v_add_f64 v[14:15], v[48:49], v[14:15]
	v_add_f64 v[48:49], v[126:127], -v[130:131]
	v_add_f64 v[6:7], v[50:51], v[6:7]
	v_fma_f64 v[50:51], v[112:113], s[6:7], -v[92:93]
	v_add_f64 v[8:9], v[80:81], v[8:9]
	v_fma_f64 v[80:81], v[106:107], s[4:5], -v[94:95]
	v_add_f64 v[78:79], v[90:91], v[78:79]
	v_fma_f64 v[90:91], v[112:113], s[6:7], v[92:93]
	v_fma_f64 v[88:89], v[106:107], s[6:7], v[88:89]
	v_add_f64 v[20:21], v[84:85], v[20:21]
	v_fma_f64 v[84:85], v[112:113], s[4:5], v[96:97]
	v_fma_f64 v[92:93], v[106:107], s[4:5], v[94:95]
	v_fma_f64 v[94:95], v[112:113], s[4:5], -v[96:97]
	v_fma_f64 v[96:97], v[106:107], s[18:19], -v[56:57]
	v_add_f64 v[22:23], v[58:59], v[22:23]
	v_fma_f64 v[58:59], v[112:113], s[18:19], v[86:87]
	v_add_f64 v[30:31], v[98:99], v[30:31]
	v_fma_f64 v[56:57], v[106:107], s[18:19], v[56:57]
	v_fma_f64 v[86:87], v[112:113], s[18:19], -v[86:87]
	v_fma_f64 v[98:99], v[106:107], s[2:3], -v[100:101]
	v_mul_f64 v[82:83], v[82:83], s[16:17]
	v_fma_f64 v[104:105], v[112:113], s[2:3], v[46:47]
	v_add_f64 v[108:109], v[124:125], v[128:129]
	v_add_f64 v[110:111], v[126:127], v[130:131]
	v_mul_f64 v[114:115], v[48:49], s[24:25]
	v_mul_f64 v[116:117], v[102:103], s[24:25]
	v_add_f64 v[0:1], v[50:51], v[0:1]
	v_fma_f64 v[50:51], v[106:107], s[2:3], v[100:101]
	v_fma_f64 v[46:47], v[112:113], s[2:3], -v[46:47]
	v_add_f64 v[10:11], v[80:81], v[10:11]
	v_fma_f64 v[80:81], v[106:107], s[12:13], -v[76:77]
	v_add_f64 v[42:43], v[90:91], v[42:43]
	v_add_f64 v[4:5], v[88:89], v[4:5]
	;; [unrolled: 1-line block ×7, first 2 shown]
	v_mul_f64 v[58:59], v[48:49], s[28:29]
	v_mul_f64 v[84:85], v[102:103], s[28:29]
	v_add_f64 v[2:3], v[56:57], v[2:3]
	v_add_f64 v[28:29], v[86:87], v[28:29]
	v_fma_f64 v[56:57], v[106:107], s[12:13], v[76:77]
	v_fma_f64 v[76:77], v[112:113], s[12:13], v[82:83]
	v_add_f64 v[38:39], v[98:99], v[38:39]
	v_fma_f64 v[82:83], v[112:113], s[12:13], -v[82:83]
	v_fma_f64 v[86:87], v[108:109], s[18:19], -v[114:115]
	v_fma_f64 v[88:89], v[110:111], s[18:19], v[116:117]
	v_mul_f64 v[90:91], v[48:49], s[20:21]
	v_mul_f64 v[92:93], v[102:103], s[20:21]
	v_add_f64 v[32:33], v[50:51], v[32:33]
	v_add_f64 v[34:35], v[46:47], v[34:35]
	v_mul_f64 v[46:47], v[48:49], s[38:39]
	v_mul_f64 v[50:51], v[102:103], s[38:39]
	v_add_f64 v[44:45], v[80:81], v[44:45]
	v_fma_f64 v[80:81], v[108:109], s[18:19], v[114:115]
	v_mul_f64 v[94:95], v[48:49], s[16:17]
	v_mul_f64 v[96:97], v[102:103], s[16:17]
	v_fma_f64 v[98:99], v[110:111], s[18:19], -v[116:117]
	v_mul_f64 v[48:49], v[48:49], s[22:23]
	v_mul_f64 v[102:103], v[102:103], s[22:23]
	v_add_f64 v[40:41], v[104:105], v[40:41]
	v_fma_f64 v[100:101], v[108:109], s[2:3], -v[58:59]
	v_fma_f64 v[104:105], v[110:111], s[2:3], v[84:85]
	v_fma_f64 v[106:107], v[108:109], s[2:3], v[58:59]
	v_fma_f64 v[84:85], v[110:111], s[2:3], -v[84:85]
	v_add_f64 v[114:115], v[76:77], v[78:79]
	v_add_f64 v[12:13], v[56:57], v[12:13]
	;; [unrolled: 1-line block ×5, first 2 shown]
	v_fma_f64 v[8:9], v[108:109], s[14:15], -v[90:91]
	v_fma_f64 v[14:15], v[110:111], s[14:15], v[92:93]
	v_fma_f64 v[86:87], v[108:109], s[14:15], v[90:91]
	v_fma_f64 v[88:89], v[110:111], s[14:15], -v[92:93]
	v_fma_f64 v[90:91], v[108:109], s[4:5], -v[46:47]
	v_fma_f64 v[112:113], v[110:111], s[4:5], v[50:51]
	v_fma_f64 v[46:47], v[108:109], s[4:5], v[46:47]
	v_fma_f64 v[50:51], v[110:111], s[4:5], -v[50:51]
	v_fma_f64 v[116:117], v[108:109], s[12:13], -v[94:95]
	v_fma_f64 v[118:119], v[110:111], s[12:13], v[96:97]
	v_fma_f64 v[206:207], v[108:109], s[12:13], v[94:95]
	v_add_f64 v[92:93], v[80:81], v[20:21]
	v_fma_f64 v[20:21], v[110:111], s[12:13], -v[96:97]
	v_fma_f64 v[208:209], v[108:109], s[6:7], -v[48:49]
	v_fma_f64 v[210:211], v[110:111], s[6:7], v[102:103]
	v_fma_f64 v[48:49], v[108:109], s[6:7], v[48:49]
	v_add_f64 v[94:95], v[98:99], v[22:23]
	v_fma_f64 v[22:23], v[110:111], s[6:7], -v[102:103]
	v_add_f64 v[76:77], v[100:101], v[30:31]
	v_add_f64 v[78:79], v[104:105], v[42:43]
	;; [unrolled: 1-line block ×15, first 2 shown]
	v_mul_lo_u16 v0, v232, 13
	v_add_f64 v[106:107], v[20:21], v[34:35]
	v_add_f64 v[112:113], v[208:209], v[44:45]
	;; [unrolled: 1-line block ×4, first 2 shown]
	v_and_b32_e32 v0, 0xffff, v0
	v_add_f64 v[118:119], v[22:23], v[6:7]
	s_barrier
	buffer_gl0_inv
	v_lshl_add_u32 v254, v0, 4, v245
	ds_write_b128 v254, v[152:155]
	ds_write_b128 v254, v[156:159] offset:16
	ds_write_b128 v254, v[172:175] offset:32
	;; [unrolled: 1-line block ×12, first 2 shown]
	s_and_saveexec_b32 s2, vcc_lo
	s_cbranch_execz .LBB0_7
; %bb.6:
	v_add_f64 v[0:1], v[54:55], v[62:63]
	v_add_f64 v[2:3], v[52:53], v[60:61]
	;; [unrolled: 1-line block ×24, first 2 shown]
	ds_write_b128 v245, v[56:59] offset:2720
	ds_write_b128 v245, v[76:79] offset:2736
	ds_write_b128 v245, v[80:83] offset:2752
	ds_write_b128 v245, v[84:87] offset:2768
	ds_write_b128 v245, v[88:91] offset:2784
	ds_write_b128 v245, v[112:115] offset:2800
	ds_write_b128 v245, v[116:119] offset:2816
	ds_write_b128 v245, v[104:107] offset:2832
	ds_write_b128 v245, v[108:111] offset:2848
	ds_write_b128 v245, v[100:103] offset:2864
	ds_write_b128 v245, v[96:99] offset:2880
	ds_write_b128 v245, v[52:55] offset:2704
	ds_write_b128 v245, v[92:95] offset:2896
.LBB0_7:
	s_or_b32 exec_lo, exec_lo, s2
	v_add_nc_u16 v0, v232, 26
	v_add_nc_u16 v1, v232, 39
	;; [unrolled: 1-line block ×3, first 2 shown]
	v_mov_b32_e32 v5, 4
	v_lshlrev_b32_e32 v176, 4, v232
	v_and_b32_e32 v2, 0xff, v0
	v_and_b32_e32 v3, 0xff, v1
	;; [unrolled: 1-line block ×3, first 2 shown]
	s_waitcnt lgkmcnt(0)
	s_barrier
	v_mul_lo_u16 v2, 0x4f, v2
	v_mul_lo_u16 v3, 0x4f, v3
	buffer_gl0_inv
	global_load_dwordx4 v[52:55], v176, s[0:1]
	s_mov_b32 s6, 0xe976ee23
	v_lshrrev_b16 v2, 10, v2
	v_lshrrev_b16 v3, 10, v3
	s_mov_b32 s7, 0xbfe11646
	s_mov_b32 s4, 0x429ad128
	;; [unrolled: 1-line block ×3, first 2 shown]
	v_mul_lo_u16 v2, v2, 13
	v_mul_lo_u16 v3, v3, 13
	s_mov_b32 s2, 0x37c3f68c
	s_mov_b32 s14, 0x37e14327
	;; [unrolled: 1-line block ×3, first 2 shown]
	v_sub_nc_u16 v0, v0, v2
	v_add_nc_u16 v2, v232, 0x41
	v_sub_nc_u16 v1, v1, v3
	v_mul_lo_u16 v3, 0x4f, v6
	s_mov_b32 s15, 0x3fe948f6
	v_lshlrev_b32_sdwa v28, v5, v0 dst_sel:DWORD dst_unused:UNUSED_PAD src0_sel:DWORD src1_sel:BYTE_0
	v_and_b32_e32 v0, 0xff, v2
	v_lshlrev_b32_sdwa v29, v5, v1 dst_sel:DWORD dst_unused:UNUSED_PAD src0_sel:DWORD src1_sel:BYTE_0
	v_lshrrev_b16 v1, 10, v3
	v_add_nc_u16 v3, v232, 0x4e
	global_load_dwordx4 v[68:71], v28, s[0:1]
	v_mul_lo_u16 v0, 0x4f, v0
	global_load_dwordx4 v[72:75], v29, s[0:1]
	v_mul_lo_u16 v1, v1, 13
	v_add_nc_u32_e32 v246, v245, v28
	v_add_nc_u32_e32 v247, v245, v29
	v_lshrrev_b16 v0, 10, v0
	s_mov_b32 s12, 0x5476071b
	v_sub_nc_u16 v1, v4, v1
	s_mov_b32 s18, 0xb247c609
	s_mov_b32 s13, 0x3fe77f67
	v_mul_lo_u16 v0, v0, 13
	s_mov_b32 s17, 0xbfe77f67
	v_lshlrev_b32_sdwa v30, v5, v1 dst_sel:DWORD dst_unused:UNUSED_PAD src0_sel:DWORD src1_sel:BYTE_0
	v_and_b32_e32 v1, 0xff, v3
	s_mov_b32 s19, 0x3fd5d0dc
	v_sub_nc_u16 v0, v2, v0
	s_mov_b32 s21, 0xbfd5d0dc
	global_load_dwordx4 v[120:123], v30, s[0:1]
	v_mul_lo_u16 v1, 0x4f, v1
	s_mov_b32 s20, s18
	v_lshlrev_b32_sdwa v31, v5, v0 dst_sel:DWORD dst_unused:UNUSED_PAD src0_sel:DWORD src1_sel:BYTE_0
	s_mov_b32 s16, s12
	v_lshrrev_b16 v0, 10, v1
	global_load_dwordx4 v[124:127], v31, s[0:1]
	v_mul_lo_u16 v0, v0, 13
	v_sub_nc_u16 v0, v3, v0
	v_lshlrev_b32_sdwa v32, v5, v0 dst_sel:DWORD dst_unused:UNUSED_PAD src0_sel:DWORD src1_sel:BYTE_0
	global_load_dwordx4 v[128:131], v32, s[0:1]
	ds_read_b128 v[60:63], v248 offset:1456
	ds_read_b128 v[64:67], v248 offset:1664
	;; [unrolled: 1-line block ×6, first 2 shown]
	v_add_nc_u32_e32 v253, v245, v32
	s_waitcnt vmcnt(5) lgkmcnt(5)
	v_mul_f64 v[0:1], v[62:63], v[54:55]
	v_mul_f64 v[2:3], v[60:61], v[54:55]
	s_waitcnt lgkmcnt(4)
	v_mul_f64 v[4:5], v[66:67], v[54:55]
	v_mul_f64 v[6:7], v[64:65], v[54:55]
	v_fma_f64 v[0:1], v[60:61], v[52:53], -v[0:1]
	v_fma_f64 v[2:3], v[62:63], v[52:53], v[2:3]
	ds_read_b128 v[60:63], v248 offset:2496
	v_fma_f64 v[4:5], v[64:65], v[52:53], -v[4:5]
	v_fma_f64 v[6:7], v[66:67], v[52:53], v[6:7]
	ds_read_b128 v[64:67], v248 offset:2704
	s_waitcnt vmcnt(4) lgkmcnt(5)
	v_mul_f64 v[8:9], v[134:135], v[70:71]
	v_mul_f64 v[10:11], v[132:133], v[70:71]
	s_waitcnt vmcnt(3) lgkmcnt(3)
	v_mul_f64 v[12:13], v[142:143], v[74:75]
	v_mul_f64 v[14:15], v[140:141], v[74:75]
	;; [unrolled: 3-line block ×4, first 2 shown]
	v_fma_f64 v[8:9], v[132:133], v[68:69], -v[8:9]
	v_fma_f64 v[10:11], v[134:135], v[68:69], v[10:11]
	v_fma_f64 v[12:13], v[140:141], v[72:73], -v[12:13]
	v_fma_f64 v[14:15], v[142:143], v[72:73], v[14:15]
	;; [unrolled: 2-line block ×3, first 2 shown]
	s_waitcnt vmcnt(0) lgkmcnt(0)
	v_mul_f64 v[24:25], v[66:67], v[130:131]
	v_mul_f64 v[26:27], v[64:65], v[130:131]
	v_fma_f64 v[20:21], v[60:61], v[124:125], -v[20:21]
	v_fma_f64 v[22:23], v[62:63], v[124:125], v[22:23]
	ds_read_b128 v[60:63], v248
	v_fma_f64 v[24:25], v[64:65], v[128:129], -v[24:25]
	v_fma_f64 v[26:27], v[66:67], v[128:129], v[26:27]
	ds_read_b128 v[64:67], v248 offset:208
	ds_read_b128 v[144:147], v248 offset:416
	;; [unrolled: 1-line block ×5, first 2 shown]
	s_waitcnt lgkmcnt(5)
	v_add_f64 v[132:133], v[60:61], -v[0:1]
	v_add_f64 v[134:135], v[62:63], -v[2:3]
	v_add_nc_u32_e32 v0, v245, v30
	v_add_nc_u32_e32 v1, v245, v31
	s_waitcnt lgkmcnt(0)
	s_barrier
	buffer_gl0_inv
	v_add_f64 v[152:153], v[144:145], -v[8:9]
	v_add_f64 v[168:169], v[160:161], -v[16:17]
	;; [unrolled: 1-line block ×12, first 2 shown]
	v_fma_f64 v[60:61], v[60:61], 2.0, -v[132:133]
	v_fma_f64 v[62:63], v[62:63], 2.0, -v[134:135]
	;; [unrolled: 1-line block ×14, first 2 shown]
	v_mad_u64_u32 v[164:165], null, 0x60, v232, s[0:1]
	ds_write_b128 v248, v[132:135] offset:208
	ds_write_b128 v248, v[140:143] offset:624
	ds_write_b128 v248, v[60:63]
	ds_write_b128 v248, v[64:67] offset:416
	ds_write_b128 v246, v[152:155] offset:1040
	;; [unrolled: 1-line block ×8, first 2 shown]
	buffer_store_dword v0, off, s[68:71], 0 offset:220 ; 4-byte Folded Spill
	ds_write_b128 v0, v[160:163] offset:1664
	buffer_store_dword v1, off, s[68:71], 0 offset:224 ; 4-byte Folded Spill
	ds_write_b128 v1, v[177:180] offset:2080
	ds_write_b128 v253, v[136:139] offset:2496
	s_waitcnt lgkmcnt(0)
	s_waitcnt_vscnt null, 0x0
	s_barrier
	buffer_gl0_inv
	s_clause 0x3
	global_load_dwordx4 v[64:67], v[164:165], off offset:208
	global_load_dwordx4 v[60:63], v[164:165], off offset:224
	;; [unrolled: 1-line block ×4, first 2 shown]
	ds_read_b128 v[140:143], v248 offset:416
	ds_read_b128 v[156:159], v248 offset:624
	;; [unrolled: 1-line block ×4, first 2 shown]
	s_mov_b32 s0, 0xaaaaaaaa
	s_mov_b32 s1, 0xbff2aaaa
	s_waitcnt vmcnt(3) lgkmcnt(3)
	v_mul_f64 v[0:1], v[142:143], v[66:67]
	v_mul_f64 v[2:3], v[140:141], v[66:67]
	s_waitcnt vmcnt(2) lgkmcnt(1)
	v_mul_f64 v[4:5], v[146:147], v[62:63]
	v_mul_f64 v[6:7], v[144:145], v[62:63]
	v_fma_f64 v[0:1], v[140:141], v[64:65], -v[0:1]
	v_fma_f64 v[2:3], v[142:143], v[64:65], v[2:3]
	ds_read_b128 v[140:143], v248 offset:2496
	ds_read_b128 v[170:173], v248 offset:2704
	v_fma_f64 v[4:5], v[144:145], v[60:61], -v[4:5]
	v_fma_f64 v[6:7], v[146:147], v[60:61], v[6:7]
	s_waitcnt vmcnt(1) lgkmcnt(1)
	v_mul_f64 v[8:9], v[142:143], v[134:135]
	v_mul_f64 v[10:11], v[140:141], v[134:135]
	v_fma_f64 v[8:9], v[140:141], v[132:133], -v[8:9]
	v_fma_f64 v[10:11], v[142:143], v[132:133], v[10:11]
	ds_read_b128 v[140:143], v248 offset:2080
	ds_read_b128 v[177:180], v248 offset:2288
	s_waitcnt vmcnt(0) lgkmcnt(1)
	v_mul_f64 v[12:13], v[142:143], v[138:139]
	v_mul_f64 v[14:15], v[140:141], v[138:139]
	v_add_f64 v[48:49], v[0:1], v[8:9]
	v_add_f64 v[0:1], v[0:1], -v[8:9]
	v_fma_f64 v[12:13], v[140:141], v[136:137], -v[12:13]
	v_fma_f64 v[14:15], v[142:143], v[136:137], v[14:15]
	s_clause 0x1
	global_load_dwordx4 v[144:147], v[164:165], off offset:240
	global_load_dwordx4 v[140:143], v[164:165], off offset:256
	ds_read_b128 v[148:151], v248 offset:1248
	ds_read_b128 v[181:184], v248 offset:1456
	v_add_f64 v[50:51], v[4:5], v[12:13]
	v_add_f64 v[4:5], v[4:5], -v[12:13]
	s_waitcnt vmcnt(1) lgkmcnt(1)
	v_mul_f64 v[16:17], v[150:151], v[146:147]
	v_mul_f64 v[18:19], v[148:149], v[146:147]
	v_fma_f64 v[16:17], v[148:149], v[144:145], -v[16:17]
	v_fma_f64 v[18:19], v[150:151], v[144:145], v[18:19]
	ds_read_b128 v[148:151], v248 offset:1664
	ds_read_b128 v[185:188], v248 offset:1872
	s_waitcnt vmcnt(0) lgkmcnt(1)
	v_mul_f64 v[20:21], v[150:151], v[142:143]
	v_mul_f64 v[22:23], v[148:149], v[142:143]
	v_fma_f64 v[20:21], v[148:149], v[140:141], -v[20:21]
	v_fma_f64 v[22:23], v[150:151], v[140:141], v[22:23]
	s_clause 0x1
	global_load_dwordx4 v[152:155], v[164:165], off offset:1456
	global_load_dwordx4 v[148:151], v[164:165], off offset:1472
	v_add_f64 v[12:13], v[20:21], -v[16:17]
	v_add_f64 v[189:190], v[18:19], v[22:23]
	v_add_f64 v[8:9], v[22:23], -v[18:19]
	v_add_f64 v[22:23], v[12:13], -v[4:5]
	v_mul_f64 v[22:23], v[22:23], s[6:7]
	s_waitcnt vmcnt(1)
	v_mul_f64 v[24:25], v[158:159], v[154:155]
	v_mul_f64 v[26:27], v[156:157], v[154:155]
	s_waitcnt vmcnt(0)
	v_mul_f64 v[32:33], v[168:169], v[150:151]
	v_mul_f64 v[34:35], v[166:167], v[150:151]
	v_fma_f64 v[24:25], v[156:157], v[152:153], -v[24:25]
	v_fma_f64 v[26:27], v[158:159], v[152:153], v[26:27]
	s_clause 0x1
	global_load_dwordx4 v[160:163], v[164:165], off offset:1536
	global_load_dwordx4 v[156:159], v[164:165], off offset:1520
	v_fma_f64 v[32:33], v[166:167], v[148:149], -v[32:33]
	v_fma_f64 v[34:35], v[168:169], v[148:149], v[34:35]
	s_waitcnt vmcnt(1)
	v_mul_f64 v[28:29], v[172:173], v[162:163]
	v_mul_f64 v[30:31], v[170:171], v[162:163]
	s_waitcnt vmcnt(0)
	v_mul_f64 v[36:37], v[179:180], v[158:159]
	v_mul_f64 v[38:39], v[177:178], v[158:159]
	v_fma_f64 v[28:29], v[170:171], v[160:161], -v[28:29]
	s_clause 0x1
	global_load_dwordx4 v[168:171], v[164:165], off offset:1488
	global_load_dwordx4 v[164:167], v[164:165], off offset:1504
	v_fma_f64 v[30:31], v[172:173], v[160:161], v[30:31]
	v_fma_f64 v[36:37], v[177:178], v[156:157], -v[36:37]
	v_fma_f64 v[38:39], v[179:180], v[156:157], v[38:39]
	v_add_f64 v[172:173], v[50:51], v[48:49]
	v_add_f64 v[201:202], v[24:25], v[28:29]
	;; [unrolled: 1-line block ×7, first 2 shown]
	s_waitcnt vmcnt(1)
	v_mul_f64 v[40:41], v[183:184], v[170:171]
	v_mul_f64 v[42:43], v[181:182], v[170:171]
	s_waitcnt vmcnt(0) lgkmcnt(0)
	v_mul_f64 v[44:45], v[187:188], v[166:167]
	v_mul_f64 v[46:47], v[185:186], v[166:167]
	v_fma_f64 v[40:41], v[181:182], v[168:169], -v[40:41]
	v_fma_f64 v[42:43], v[183:184], v[168:169], v[42:43]
	v_fma_f64 v[44:45], v[185:186], v[164:165], -v[44:45]
	v_fma_f64 v[46:47], v[187:188], v[164:165], v[46:47]
	v_add_f64 v[185:186], v[16:17], v[20:21]
	v_add_f64 v[187:188], v[2:3], v[10:11]
	v_add_f64 v[183:184], v[6:7], v[14:15]
	v_add_f64 v[6:7], v[6:7], -v[14:15]
	v_add_f64 v[2:3], v[2:3], -v[10:11]
	v_add_f64 v[20:21], v[12:13], v[4:5]
	v_add_f64 v[4:5], v[4:5], -v[0:1]
	v_add_f64 v[10:11], v[50:51], -v[48:49]
	v_add_f64 v[214:215], v[40:41], v[44:45]
	v_add_f64 v[218:219], v[42:43], v[46:47]
	v_add_f64 v[181:182], v[185:186], v[172:173]
	v_add_f64 v[14:15], v[185:186], -v[50:51]
	v_add_f64 v[172:173], v[183:184], v[187:188]
	v_add_f64 v[18:19], v[189:190], -v[183:184]
	v_add_f64 v[50:51], v[8:9], v[6:7]
	v_add_f64 v[20:21], v[20:21], v[0:1]
	v_add_f64 v[48:49], v[48:49], -v[185:186]
	v_add_f64 v[185:186], v[187:188], -v[189:190]
	v_add_f64 v[16:17], v[183:184], -v[187:188]
	v_add_f64 v[0:1], v[0:1], -v[12:13]
	v_add_f64 v[193:194], v[214:215], v[193:194]
	v_add_f64 v[195:196], v[218:219], v[195:196]
	;; [unrolled: 1-line block ×3, first 2 shown]
	ds_read_b128 v[172:175], v248
	ds_read_b128 v[177:180], v248 offset:208
	v_add_f64 v[50:51], v[50:51], v[2:3]
	v_mul_f64 v[12:13], v[185:186], s[14:15]
	s_waitcnt lgkmcnt(1)
	v_add_f64 v[172:173], v[172:173], v[181:182]
	s_waitcnt lgkmcnt(0)
	v_add_f64 v[177:178], v[177:178], v[193:194]
	v_add_f64 v[174:175], v[174:175], v[191:192]
	;; [unrolled: 1-line block ×3, first 2 shown]
	v_fma_f64 v[197:198], v[181:182], s[0:1], v[172:173]
	v_fma_f64 v[181:182], v[4:5], s[4:5], -v[22:23]
	ds_write_b128 v248, v[172:175]
	v_fma_f64 v[172:173], v[193:194], s[0:1], v[177:178]
	ds_write_b128 v248, v[177:180] offset:208
	v_add_f64 v[177:178], v[8:9], -v[6:7]
	v_add_f64 v[6:7], v[6:7], -v[2:3]
	v_fma_f64 v[199:200], v[191:192], s[0:1], v[174:175]
	v_fma_f64 v[174:175], v[195:196], s[0:1], v[179:180]
	s_mov_b32 s0, 0x36b3c0b5
	s_mov_b32 s1, 0x3fac98ee
	v_add_f64 v[2:3], v[2:3], -v[8:9]
	v_mul_f64 v[179:180], v[18:19], s[0:1]
	v_mul_f64 v[4:5], v[4:5], s[4:5]
	;; [unrolled: 1-line block ×3, first 2 shown]
	v_fma_f64 v[183:184], v[20:21], s[2:3], v[181:182]
	v_mul_f64 v[193:194], v[177:178], s[6:7]
	v_mul_f64 v[177:178], v[14:15], s[0:1]
	v_fma_f64 v[179:180], v[16:17], s[12:13], -v[179:180]
	v_fma_f64 v[4:5], v[0:1], s[20:21], -v[4:5]
	;; [unrolled: 1-line block ×3, first 2 shown]
	v_fma_f64 v[0:1], v[0:1], s[18:19], v[22:23]
	v_fma_f64 v[181:182], v[6:7], s[4:5], -v[193:194]
	v_mul_f64 v[6:7], v[6:7], s[4:5]
	v_fma_f64 v[177:178], v[10:11], s[12:13], -v[177:178]
	v_fma_f64 v[10:11], v[10:11], s[16:17], -v[8:9]
	v_add_f64 v[195:196], v[179:180], v[199:200]
	v_fma_f64 v[4:5], v[20:21], s[2:3], v[4:5]
	v_add_f64 v[16:17], v[16:17], v[199:200]
	v_fma_f64 v[0:1], v[20:21], s[2:3], v[0:1]
	v_fma_f64 v[181:182], v[50:51], s[2:3], v[181:182]
	v_fma_f64 v[6:7], v[2:3], s[20:21], -v[6:7]
	v_add_f64 v[191:192], v[177:178], v[197:198]
	v_add_f64 v[10:11], v[10:11], v[197:198]
	v_fma_f64 v[2:3], v[2:3], s[18:19], v[193:194]
	v_add_f64 v[179:180], v[183:184], v[195:196]
	v_add_f64 v[183:184], v[195:196], -v[183:184]
	v_add_f64 v[187:188], v[16:17], -v[4:5]
	v_fma_f64 v[6:7], v[50:51], s[2:3], v[6:7]
	v_add_f64 v[177:178], v[191:192], -v[181:182]
	v_add_f64 v[181:182], v[181:182], v[191:192]
	v_add_f64 v[191:192], v[4:5], v[16:17]
	v_fma_f64 v[4:5], v[14:15], s[0:1], v[8:9]
	v_fma_f64 v[2:3], v[50:51], s[2:3], v[2:3]
	v_add_f64 v[8:9], v[46:47], -v[42:43]
	v_add_f64 v[14:15], v[214:215], -v[206:207]
	;; [unrolled: 1-line block ×3, first 2 shown]
	v_add_f64 v[185:186], v[6:7], v[10:11]
	v_add_f64 v[189:190], v[10:11], -v[6:7]
	v_fma_f64 v[6:7], v[18:19], s[0:1], v[12:13]
	v_add_f64 v[10:11], v[26:27], -v[30:31]
	v_add_f64 v[4:5], v[4:5], v[197:198]
	v_add_f64 v[18:19], v[218:219], -v[208:209]
	v_add_f64 v[12:13], v[206:207], -v[201:202]
	v_add_f64 v[6:7], v[6:7], v[199:200]
	v_add_f64 v[193:194], v[2:3], v[4:5]
	v_add_f64 v[197:198], v[4:5], -v[2:3]
	v_add_f64 v[2:3], v[44:45], -v[40:41]
	;; [unrolled: 1-line block ×3, first 2 shown]
	v_mul_f64 v[28:29], v[14:15], s[0:1]
	v_mul_f64 v[30:31], v[18:19], s[0:1]
	v_add_f64 v[195:196], v[6:7], -v[0:1]
	v_add_f64 v[199:200], v[0:1], v[6:7]
	v_add_f64 v[0:1], v[32:33], -v[36:37]
	v_add_f64 v[6:7], v[34:35], -v[38:39]
	ds_write_b128 v248, v[193:196] offset:416
	ds_write_b128 v248, v[185:188] offset:832
	;; [unrolled: 1-line block ×6, first 2 shown]
	v_fma_f64 v[28:29], v[12:13], s[12:13], -v[28:29]
	v_add_f64 v[22:23], v[2:3], -v[0:1]
	v_add_f64 v[26:27], v[8:9], -v[6:7]
	v_add_f64 v[20:21], v[2:3], v[0:1]
	v_add_f64 v[0:1], v[0:1], -v[4:5]
	v_add_f64 v[24:25], v[8:9], v[6:7]
	v_add_f64 v[6:7], v[6:7], -v[10:11]
	v_fma_f64 v[30:31], v[16:17], s[12:13], -v[30:31]
	v_add_f64 v[2:3], v[4:5], -v[2:3]
	v_lshl_add_u32 v177, v205, 4, v204
	v_add_f64 v[28:29], v[28:29], v[172:173]
	v_mul_f64 v[22:23], v[22:23], s[6:7]
	v_mul_f64 v[26:27], v[26:27], s[6:7]
	v_add_f64 v[20:21], v[20:21], v[4:5]
	v_add_f64 v[4:5], v[10:11], -v[8:9]
	v_add_f64 v[24:25], v[24:25], v[10:11]
	v_add_f64 v[30:31], v[30:31], v[174:175]
	v_fma_f64 v[32:33], v[0:1], s[4:5], -v[22:23]
	v_fma_f64 v[34:35], v[6:7], s[4:5], -v[26:27]
	v_mul_f64 v[0:1], v[0:1], s[4:5]
	v_mul_f64 v[6:7], v[6:7], s[4:5]
	v_fma_f64 v[32:33], v[20:21], s[2:3], v[32:33]
	v_fma_f64 v[34:35], v[24:25], s[2:3], v[34:35]
	v_fma_f64 v[0:1], v[2:3], s[20:21], -v[0:1]
	v_fma_f64 v[6:7], v[4:5], s[20:21], -v[6:7]
	v_add_f64 v[208:209], v[32:33], v[30:31]
	v_add_f64 v[206:207], v[28:29], -v[34:35]
	v_add_f64 v[210:211], v[34:35], v[28:29]
	v_add_f64 v[212:213], v[30:31], -v[32:33]
	v_add_f64 v[28:29], v[201:202], -v[214:215]
	v_add_f64 v[30:31], v[216:217], -v[218:219]
	v_fma_f64 v[0:1], v[20:21], s[2:3], v[0:1]
	v_fma_f64 v[6:7], v[24:25], s[2:3], v[6:7]
	v_mul_f64 v[8:9], v[28:29], s[14:15]
	v_mul_f64 v[10:11], v[30:31], s[14:15]
	v_fma_f64 v[12:13], v[12:13], s[16:17], -v[8:9]
	v_fma_f64 v[16:17], v[16:17], s[16:17], -v[10:11]
	v_add_f64 v[12:13], v[12:13], v[172:173]
	v_add_f64 v[16:17], v[16:17], v[174:175]
	;; [unrolled: 1-line block ×3, first 2 shown]
	v_add_f64 v[216:217], v[16:17], -v[0:1]
	v_add_f64 v[218:219], v[12:13], -v[6:7]
	v_add_f64 v[220:221], v[0:1], v[16:17]
	v_fma_f64 v[0:1], v[2:3], s[18:19], v[22:23]
	v_fma_f64 v[2:3], v[4:5], s[18:19], v[26:27]
	;; [unrolled: 1-line block ×4, first 2 shown]
	v_add_co_u32 v176, s0, s34, v176
	v_add_co_ci_u32_e64 v178, null, s35, 0, s0
	v_fma_f64 v[0:1], v[20:21], s[2:3], v[0:1]
	v_fma_f64 v[2:3], v[24:25], s[2:3], v[2:3]
	v_add_f64 v[4:5], v[4:5], v[172:173]
	v_add_f64 v[6:7], v[6:7], v[174:175]
	;; [unrolled: 1-line block ×3, first 2 shown]
	v_add_f64 v[224:225], v[6:7], -v[0:1]
	v_add_f64 v[172:173], v[4:5], -v[2:3]
	v_add_f64 v[174:175], v[0:1], v[6:7]
	v_add_co_u32 v0, s0, 0x800, v176
	v_add_co_ci_u32_e64 v1, s0, 0, v178, s0
	ds_write_b128 v177, v[222:225] offset:624
	ds_write_b128 v177, v[214:217] offset:1040
	;; [unrolled: 1-line block ×5, first 2 shown]
	v_add_co_u32 v2, s0, 0xb60, v176
	ds_write_b128 v177, v[172:175] offset:2704
	s_waitcnt lgkmcnt(0)
	s_barrier
	buffer_gl0_inv
	global_load_dwordx4 v[179:182], v[0:1], off offset:864
	v_add_co_ci_u32_e64 v3, s0, 0, v178, s0
	ds_read_b128 v[183:186], v248
	ds_read_b128 v[187:190], v248 offset:224
	s_clause 0x2
	global_load_dwordx4 v[191:194], v[2:3], off offset:2016
	global_load_dwordx4 v[195:198], v[2:3], off offset:224
	;; [unrolled: 1-line block ×3, first 2 shown]
	s_waitcnt vmcnt(3) lgkmcnt(1)
	v_mul_f64 v[0:1], v[185:186], v[181:182]
	v_mul_f64 v[4:5], v[183:184], v[181:182]
	v_fma_f64 v[181:182], v[183:184], v[179:180], -v[0:1]
	v_fma_f64 v[183:184], v[185:186], v[179:180], v[4:5]
	s_waitcnt vmcnt(1) lgkmcnt(0)
	v_mul_f64 v[0:1], v[189:190], v[197:198]
	v_mul_f64 v[4:5], v[187:188], v[197:198]
	v_fma_f64 v[185:186], v[187:188], v[195:196], -v[0:1]
	v_fma_f64 v[187:188], v[189:190], v[195:196], v[4:5]
	ds_read_b128 v[195:198], v248 offset:448
	ds_read_b128 v[203:206], v248 offset:672
	s_waitcnt vmcnt(0) lgkmcnt(1)
	v_mul_f64 v[0:1], v[197:198], v[201:202]
	v_mul_f64 v[4:5], v[195:196], v[201:202]
	v_fma_f64 v[195:196], v[195:196], v[199:200], -v[0:1]
	v_fma_f64 v[197:198], v[197:198], v[199:200], v[4:5]
	s_clause 0x1
	global_load_dwordx4 v[199:202], v[2:3], off offset:672
	global_load_dwordx4 v[207:210], v[2:3], off offset:896
	ds_read_b128 v[211:214], v248 offset:896
	ds_read_b128 v[215:218], v248 offset:1120
	s_waitcnt vmcnt(1) lgkmcnt(2)
	v_mul_f64 v[0:1], v[205:206], v[201:202]
	v_mul_f64 v[4:5], v[203:204], v[201:202]
	v_fma_f64 v[201:202], v[203:204], v[199:200], -v[0:1]
	s_waitcnt vmcnt(0) lgkmcnt(1)
	v_mul_f64 v[0:1], v[213:214], v[209:210]
	v_fma_f64 v[203:204], v[205:206], v[199:200], v[4:5]
	v_mul_f64 v[4:5], v[211:212], v[209:210]
	v_fma_f64 v[205:206], v[211:212], v[207:208], -v[0:1]
	s_clause 0x1
	global_load_dwordx4 v[209:212], v[2:3], off offset:1120
	global_load_dwordx4 v[219:222], v[2:3], off offset:1344
	v_fma_f64 v[207:208], v[213:214], v[207:208], v[4:5]
	s_waitcnt vmcnt(1) lgkmcnt(0)
	v_mul_f64 v[0:1], v[217:218], v[211:212]
	v_mul_f64 v[4:5], v[215:216], v[211:212]
	v_fma_f64 v[211:212], v[215:216], v[209:210], -v[0:1]
	v_fma_f64 v[213:214], v[217:218], v[209:210], v[4:5]
	ds_read_b128 v[215:218], v248 offset:1344
	ds_read_b128 v[223:226], v248 offset:1568
	s_waitcnt vmcnt(0) lgkmcnt(1)
	v_mul_f64 v[0:1], v[217:218], v[221:222]
	v_mul_f64 v[4:5], v[215:216], v[221:222]
	v_fma_f64 v[215:216], v[215:216], v[219:220], -v[0:1]
	v_fma_f64 v[217:218], v[217:218], v[219:220], v[4:5]
	s_clause 0x1
	global_load_dwordx4 v[219:222], v[2:3], off offset:1568
	global_load_dwordx4 v[227:230], v[2:3], off offset:1792
	ds_read_b128 v[233:236], v248 offset:1792
	ds_read_b128 v[237:240], v248 offset:2016
	s_waitcnt vmcnt(1) lgkmcnt(2)
	v_mul_f64 v[0:1], v[225:226], v[221:222]
	v_mul_f64 v[2:3], v[223:224], v[221:222]
	v_fma_f64 v[221:222], v[223:224], v[219:220], -v[0:1]
	s_waitcnt vmcnt(0) lgkmcnt(1)
	v_mul_f64 v[0:1], v[235:236], v[229:230]
	v_fma_f64 v[223:224], v[225:226], v[219:220], v[2:3]
	v_mul_f64 v[2:3], v[233:234], v[229:230]
	v_fma_f64 v[225:226], v[233:234], v[227:228], -v[0:1]
	s_waitcnt lgkmcnt(0)
	v_mul_f64 v[0:1], v[239:240], v[193:194]
	v_fma_f64 v[227:228], v[235:236], v[227:228], v[2:3]
	v_mul_f64 v[2:3], v[237:238], v[193:194]
	v_fma_f64 v[189:190], v[237:238], v[191:192], -v[0:1]
	v_add_co_u32 v0, s0, 0x1000, v176
	v_add_co_ci_u32_e64 v1, s0, 0, v178, s0
	v_fma_f64 v[191:192], v[239:240], v[191:192], v[2:3]
	s_clause 0x1
	global_load_dwordx4 v[233:236], v[0:1], off offset:1056
	global_load_dwordx4 v[237:240], v[0:1], off offset:1280
	ds_read_b128 v[241:244], v248 offset:2240
	ds_read_b128 v[249:252], v248 offset:2464
	s_waitcnt vmcnt(1) lgkmcnt(1)
	v_mul_f64 v[2:3], v[243:244], v[235:236]
	v_mul_f64 v[4:5], v[241:242], v[235:236]
	v_fma_f64 v[241:242], v[241:242], v[233:234], -v[2:3]
	v_fma_f64 v[243:244], v[243:244], v[233:234], v[4:5]
	s_waitcnt vmcnt(0) lgkmcnt(0)
	v_mul_f64 v[2:3], v[251:252], v[239:240]
	v_mul_f64 v[4:5], v[249:250], v[239:240]
	v_fma_f64 v[233:234], v[249:250], v[237:238], -v[2:3]
	v_fma_f64 v[235:236], v[251:252], v[237:238], v[4:5]
	global_load_dwordx4 v[237:240], v[0:1], off offset:1504
	ds_read_b128 v[249:252], v248 offset:2688
	s_waitcnt vmcnt(0) lgkmcnt(0)
	v_mul_f64 v[0:1], v[251:252], v[239:240]
	v_mul_f64 v[2:3], v[249:250], v[239:240]
	v_fma_f64 v[249:250], v[249:250], v[237:238], -v[0:1]
	v_fma_f64 v[251:252], v[251:252], v[237:238], v[2:3]
	ds_write_b128 v248, v[181:184]
	ds_write_b128 v248, v[185:188] offset:224
	ds_write_b128 v248, v[195:198] offset:448
	;; [unrolled: 1-line block ×12, first 2 shown]
	s_and_saveexec_b32 s33, vcc_lo
	s_cbranch_execz .LBB0_9
; %bb.8:
	s_load_dwordx4 s[0:3], s[34:35], 0xc30
	ds_read_b128 v[178:181], v245 offset:208
	ds_read_b128 v[182:185], v245 offset:432
	s_clause 0x1
	s_load_dwordx4 s[4:7], s[34:35], 0xd10
	s_load_dwordx4 s[12:15], s[34:35], 0xdf0
	ds_read_b128 v[186:189], v245 offset:656
	ds_read_b128 v[190:193], v245 offset:880
	s_load_dwordx4 s[16:19], s[34:35], 0xed0
	ds_read_b128 v[194:197], v245 offset:1104
	ds_read_b128 v[198:201], v245 offset:1328
	s_clause 0x1
	s_load_dwordx4 s[20:23], s[34:35], 0xfb0
	s_load_dwordx4 s[24:27], s[34:35], 0x1090
	ds_read_b128 v[202:205], v245 offset:1552
	ds_read_b128 v[206:209], v245 offset:1776
	s_clause 0x1
	s_load_dwordx4 s[44:47], s[34:35], 0x1170
	;; [unrolled: 5-line block ×3, first 2 shown]
	s_load_dwordx4 s[40:43], s[34:35], 0x1410
	s_load_dwordx4 s[48:51], s[34:35], 0x14f0
	ds_read_b128 v[218:221], v245 offset:2448
	ds_read_b128 v[222:225], v245 offset:2672
	;; [unrolled: 1-line block ×3, first 2 shown]
	s_waitcnt lgkmcnt(0)
	v_mul_f64 v[0:1], v[180:181], s[2:3]
	v_mul_f64 v[2:3], v[178:179], s[2:3]
	;; [unrolled: 1-line block ×16, first 2 shown]
	v_fma_f64 v[178:179], v[178:179], s[0:1], -v[0:1]
	v_fma_f64 v[180:181], v[180:181], s[0:1], v[2:3]
	s_load_dwordx4 s[0:3], s[34:35], 0x15d0
	v_fma_f64 v[182:183], v[182:183], s[4:5], -v[4:5]
	v_fma_f64 v[184:185], v[184:185], s[4:5], v[6:7]
	s_load_dwordx4 s[4:7], s[34:35], 0x16b0
	v_mul_f64 v[0:1], v[212:213], s[38:39]
	v_mul_f64 v[2:3], v[210:211], s[38:39]
	;; [unrolled: 1-line block ×4, first 2 shown]
	v_fma_f64 v[186:187], v[186:187], s[12:13], -v[8:9]
	v_fma_f64 v[188:189], v[188:189], s[12:13], v[10:11]
	v_mul_f64 v[8:9], v[220:221], s[50:51]
	v_mul_f64 v[10:11], v[218:219], s[50:51]
	v_fma_f64 v[190:191], v[190:191], s[16:17], -v[12:13]
	v_fma_f64 v[192:193], v[192:193], s[16:17], v[14:15]
	v_fma_f64 v[194:195], v[194:195], s[20:21], -v[16:17]
	v_fma_f64 v[196:197], v[196:197], s[20:21], v[18:19]
	;; [unrolled: 2-line block ×4, first 2 shown]
	s_waitcnt lgkmcnt(0)
	v_mul_f64 v[12:13], v[224:225], s[2:3]
	v_mul_f64 v[14:15], v[222:223], s[2:3]
	v_fma_f64 v[206:207], v[206:207], s[28:29], -v[28:29]
	v_mul_f64 v[16:17], v[228:229], s[6:7]
	v_mul_f64 v[18:19], v[226:227], s[6:7]
	v_fma_f64 v[208:209], v[208:209], s[28:29], v[30:31]
	v_fma_f64 v[210:211], v[210:211], s[36:37], -v[0:1]
	v_fma_f64 v[212:213], v[212:213], s[36:37], v[2:3]
	v_fma_f64 v[214:215], v[214:215], s[40:41], -v[4:5]
	;; [unrolled: 2-line block ×5, first 2 shown]
	v_fma_f64 v[228:229], v[228:229], s[4:5], v[18:19]
	ds_write_b128 v245, v[178:181] offset:208
	ds_write_b128 v245, v[182:185] offset:432
	;; [unrolled: 1-line block ×13, first 2 shown]
.LBB0_9:
	s_or_b32 exec_lo, exec_lo, s33
	s_waitcnt lgkmcnt(0)
	s_barrier
	buffer_gl0_inv
	ds_read_b128 v[220:223], v248
	ds_read_b128 v[224:227], v248 offset:224
	ds_read_b128 v[212:215], v248 offset:448
	;; [unrolled: 1-line block ×12, first 2 shown]
	s_and_saveexec_b32 s0, vcc_lo
	s_cbranch_execz .LBB0_11
; %bb.10:
	ds_read_b128 v[172:175], v245 offset:208
	ds_read_b128 v[56:59], v245 offset:432
	;; [unrolled: 1-line block ×13, first 2 shown]
.LBB0_11:
	s_or_b32 exec_lo, exec_lo, s0
	s_waitcnt lgkmcnt(11)
	v_add_f64 v[0:1], v[220:221], v[224:225]
	v_add_f64 v[2:3], v[222:223], v[226:227]
	s_waitcnt lgkmcnt(0)
	v_add_f64 v[6:7], v[226:227], -v[230:231]
	s_mov_b32 s28, 0x4267c47c
	s_mov_b32 s14, 0x42a4c3d2
	;; [unrolled: 1-line block ×12, first 2 shown]
	v_add_nc_u32_e32 v255, 0xd0, v177
	s_mov_b32 s0, 0xe00740e9
	s_mov_b32 s2, 0x1ea71119
	;; [unrolled: 1-line block ×6, first 2 shown]
	v_add_f64 v[0:1], v[0:1], v[212:213]
	v_add_f64 v[2:3], v[2:3], v[214:215]
	v_mul_f64 v[8:9], v[6:7], s[28:29]
	v_mul_f64 v[16:17], v[6:7], s[14:15]
	;; [unrolled: 1-line block ×6, first 2 shown]
	s_mov_b32 s1, 0x3fec55a7
	s_mov_b32 s3, 0x3fe22d96
	;; [unrolled: 1-line block ×6, first 2 shown]
	v_add_f64 v[4:5], v[224:225], -v[228:229]
	s_mov_b32 s7, 0x3fddbe06
	s_mov_b32 s6, s28
	;; [unrolled: 1-line block ×7, first 2 shown]
	v_add_f64 v[0:1], v[0:1], v[204:205]
	v_add_f64 v[2:3], v[2:3], v[206:207]
	s_mov_b32 s26, s30
	s_mov_b32 s39, 0x3fe5384d
	;; [unrolled: 1-line block ×5, first 2 shown]
	v_add_f64 v[237:238], v[182:183], -v[186:187]
	v_add_f64 v[233:234], v[182:183], v[186:187]
	s_barrier
	buffer_gl0_inv
	v_add_f64 v[0:1], v[0:1], v[196:197]
	v_add_f64 v[2:3], v[2:3], v[198:199]
	;; [unrolled: 1-line block ×21, first 2 shown]
	v_add_f64 v[224:225], v[180:181], -v[184:185]
	v_fma_f64 v[10:11], v[0:1], s[0:1], v[8:9]
	v_mul_f64 v[12:13], v[2:3], s[0:1]
	v_fma_f64 v[8:9], v[0:1], s[0:1], -v[8:9]
	v_fma_f64 v[18:19], v[0:1], s[2:3], v[16:17]
	v_mul_f64 v[20:21], v[2:3], s[2:3]
	v_fma_f64 v[16:17], v[0:1], s[2:3], -v[16:17]
	;; [unrolled: 3-line block ×6, first 2 shown]
	v_add_f64 v[6:7], v[214:215], v[218:219]
	v_add_f64 v[214:215], v[214:215], -v[218:219]
	v_add_f64 v[10:11], v[220:221], v[10:11]
	v_fma_f64 v[14:15], v[4:5], s[6:7], v[12:13]
	v_fma_f64 v[12:13], v[4:5], s[28:29], v[12:13]
	v_add_f64 v[8:9], v[220:221], v[8:9]
	v_fma_f64 v[22:23], v[4:5], s[4:5], v[20:21]
	v_fma_f64 v[20:21], v[4:5], s[14:15], v[20:21]
	;; [unrolled: 3-line block ×6, first 2 shown]
	v_add_f64 v[4:5], v[212:213], v[216:217]
	v_add_f64 v[212:213], v[212:213], -v[216:217]
	v_mul_f64 v[216:217], v[214:215], s[14:15]
	v_add_f64 v[34:35], v[220:221], v[34:35]
	v_add_f64 v[32:33], v[220:221], v[32:33]
	;; [unrolled: 1-line block ×18, first 2 shown]
	v_fma_f64 v[218:219], v[4:5], s[2:3], v[216:217]
	v_fma_f64 v[216:217], v[4:5], s[2:3], -v[216:217]
	v_add_f64 v[10:11], v[218:219], v[10:11]
	v_mul_f64 v[218:219], v[6:7], s[2:3]
	v_add_f64 v[8:9], v[216:217], v[8:9]
	v_fma_f64 v[216:217], v[212:213], s[14:15], v[218:219]
	v_fma_f64 v[220:221], v[212:213], s[4:5], v[218:219]
	v_add_f64 v[12:13], v[216:217], v[12:13]
	v_mul_f64 v[216:217], v[214:215], s[30:31]
	v_add_f64 v[14:15], v[220:221], v[14:15]
	v_fma_f64 v[218:219], v[4:5], s[18:19], v[216:217]
	v_fma_f64 v[216:217], v[4:5], s[18:19], -v[216:217]
	v_add_f64 v[18:19], v[218:219], v[18:19]
	v_mul_f64 v[218:219], v[6:7], s[18:19]
	v_add_f64 v[16:17], v[216:217], v[16:17]
	v_fma_f64 v[216:217], v[212:213], s[30:31], v[218:219]
	v_fma_f64 v[220:221], v[212:213], s[26:27], v[218:219]
	v_add_f64 v[20:21], v[216:217], v[20:21]
	v_mul_f64 v[216:217], v[214:215], s[42:43]
	v_add_f64 v[22:23], v[220:221], v[22:23]
	;; [unrolled: 10-line block ×3, first 2 shown]
	v_fma_f64 v[218:219], v[4:5], s[20:21], v[216:217]
	v_fma_f64 v[216:217], v[4:5], s[20:21], -v[216:217]
	v_add_f64 v[34:35], v[218:219], v[34:35]
	v_mul_f64 v[218:219], v[6:7], s[20:21]
	v_add_f64 v[32:33], v[216:217], v[32:33]
	v_fma_f64 v[216:217], v[212:213], s[38:39], v[218:219]
	v_fma_f64 v[220:221], v[212:213], s[36:37], v[218:219]
	v_add_f64 v[36:37], v[216:217], v[36:37]
	v_mul_f64 v[216:217], v[214:215], s[22:23]
	v_mul_f64 v[214:215], v[214:215], s[6:7]
	v_add_f64 v[38:39], v[220:221], v[38:39]
	v_fma_f64 v[218:219], v[4:5], s[12:13], v[216:217]
	v_fma_f64 v[216:217], v[4:5], s[12:13], -v[216:217]
	v_add_f64 v[42:43], v[218:219], v[42:43]
	v_mul_f64 v[218:219], v[6:7], s[12:13]
	v_add_f64 v[40:41], v[216:217], v[40:41]
	v_mul_f64 v[6:7], v[6:7], s[0:1]
	v_fma_f64 v[216:217], v[212:213], s[22:23], v[218:219]
	v_fma_f64 v[220:221], v[212:213], s[16:17], v[218:219]
	v_add_f64 v[44:45], v[216:217], v[44:45]
	v_fma_f64 v[216:217], v[4:5], s[0:1], v[214:215]
	v_fma_f64 v[4:5], v[4:5], s[0:1], -v[214:215]
	v_add_f64 v[46:47], v[220:221], v[46:47]
	v_add_f64 v[48:49], v[216:217], v[48:49]
	v_fma_f64 v[216:217], v[212:213], s[28:29], v[6:7]
	v_add_f64 v[0:1], v[4:5], v[0:1]
	v_fma_f64 v[4:5], v[212:213], s[6:7], v[6:7]
	v_add_f64 v[6:7], v[206:207], v[210:211]
	v_add_f64 v[206:207], v[206:207], -v[210:211]
	v_add_f64 v[50:51], v[216:217], v[50:51]
	v_add_f64 v[2:3], v[4:5], v[2:3]
	;; [unrolled: 1-line block ×3, first 2 shown]
	v_add_f64 v[204:205], v[204:205], -v[208:209]
	v_mul_f64 v[208:209], v[206:207], s[16:17]
	v_fma_f64 v[210:211], v[4:5], s[12:13], v[208:209]
	v_fma_f64 v[208:209], v[4:5], s[12:13], -v[208:209]
	v_add_f64 v[10:11], v[210:211], v[10:11]
	v_mul_f64 v[210:211], v[6:7], s[12:13]
	v_add_f64 v[8:9], v[208:209], v[8:9]
	v_fma_f64 v[208:209], v[204:205], s[16:17], v[210:211]
	v_fma_f64 v[212:213], v[204:205], s[22:23], v[210:211]
	v_add_f64 v[12:13], v[208:209], v[12:13]
	v_mul_f64 v[208:209], v[206:207], s[42:43]
	v_add_f64 v[14:15], v[212:213], v[14:15]
	v_fma_f64 v[210:211], v[4:5], s[24:25], v[208:209]
	v_fma_f64 v[208:209], v[4:5], s[24:25], -v[208:209]
	v_add_f64 v[18:19], v[210:211], v[18:19]
	v_mul_f64 v[210:211], v[6:7], s[24:25]
	v_add_f64 v[16:17], v[208:209], v[16:17]
	v_fma_f64 v[208:209], v[204:205], s[42:43], v[210:211]
	v_fma_f64 v[212:213], v[204:205], s[40:41], v[210:211]
	v_add_f64 v[20:21], v[208:209], v[20:21]
	v_mul_f64 v[208:209], v[206:207], s[26:27]
	v_add_f64 v[22:23], v[212:213], v[22:23]
	;; [unrolled: 10-line block ×3, first 2 shown]
	v_fma_f64 v[210:211], v[4:5], s[0:1], v[208:209]
	v_fma_f64 v[208:209], v[4:5], s[0:1], -v[208:209]
	v_add_f64 v[34:35], v[210:211], v[34:35]
	v_mul_f64 v[210:211], v[6:7], s[0:1]
	v_add_f64 v[32:33], v[208:209], v[32:33]
	v_fma_f64 v[208:209], v[204:205], s[6:7], v[210:211]
	v_fma_f64 v[212:213], v[204:205], s[28:29], v[210:211]
	v_add_f64 v[36:37], v[208:209], v[36:37]
	v_mul_f64 v[208:209], v[206:207], s[14:15]
	v_mul_f64 v[206:207], v[206:207], s[36:37]
	v_add_f64 v[38:39], v[212:213], v[38:39]
	v_fma_f64 v[210:211], v[4:5], s[2:3], v[208:209]
	v_fma_f64 v[208:209], v[4:5], s[2:3], -v[208:209]
	v_add_f64 v[42:43], v[210:211], v[42:43]
	v_mul_f64 v[210:211], v[6:7], s[2:3]
	v_add_f64 v[40:41], v[208:209], v[40:41]
	v_mul_f64 v[6:7], v[6:7], s[20:21]
	v_fma_f64 v[208:209], v[204:205], s[14:15], v[210:211]
	v_fma_f64 v[212:213], v[204:205], s[4:5], v[210:211]
	v_add_f64 v[210:211], v[190:191], -v[194:195]
	v_add_f64 v[44:45], v[208:209], v[44:45]
	v_fma_f64 v[208:209], v[4:5], s[20:21], v[206:207]
	v_fma_f64 v[4:5], v[4:5], s[20:21], -v[206:207]
	v_add_f64 v[46:47], v[212:213], v[46:47]
	v_add_f64 v[48:49], v[208:209], v[48:49]
	v_fma_f64 v[208:209], v[204:205], s[38:39], v[6:7]
	v_add_f64 v[0:1], v[4:5], v[0:1]
	v_fma_f64 v[4:5], v[204:205], s[36:37], v[6:7]
	v_add_f64 v[6:7], v[198:199], v[202:203]
	v_add_f64 v[198:199], v[198:199], -v[202:203]
	v_add_f64 v[50:51], v[208:209], v[50:51]
	v_add_f64 v[208:209], v[188:189], -v[192:193]
	v_add_f64 v[2:3], v[4:5], v[2:3]
	v_add_f64 v[4:5], v[196:197], v[200:201]
	v_add_f64 v[196:197], v[196:197], -v[200:201]
	v_mul_f64 v[200:201], v[198:199], s[30:31]
	v_fma_f64 v[202:203], v[4:5], s[18:19], v[200:201]
	v_fma_f64 v[200:201], v[4:5], s[18:19], -v[200:201]
	v_add_f64 v[10:11], v[202:203], v[10:11]
	v_mul_f64 v[202:203], v[6:7], s[18:19]
	v_add_f64 v[8:9], v[200:201], v[8:9]
	v_fma_f64 v[200:201], v[196:197], s[30:31], v[202:203]
	v_fma_f64 v[204:205], v[196:197], s[26:27], v[202:203]
	v_add_f64 v[12:13], v[200:201], v[12:13]
	v_mul_f64 v[200:201], v[198:199], s[38:39]
	v_add_f64 v[14:15], v[204:205], v[14:15]
	v_fma_f64 v[202:203], v[4:5], s[20:21], v[200:201]
	v_fma_f64 v[200:201], v[4:5], s[20:21], -v[200:201]
	v_add_f64 v[18:19], v[202:203], v[18:19]
	v_mul_f64 v[202:203], v[6:7], s[20:21]
	v_add_f64 v[16:17], v[200:201], v[16:17]
	v_fma_f64 v[200:201], v[196:197], s[38:39], v[202:203]
	v_fma_f64 v[204:205], v[196:197], s[36:37], v[202:203]
	v_add_f64 v[20:21], v[200:201], v[20:21]
	v_mul_f64 v[200:201], v[198:199], s[6:7]
	v_add_f64 v[22:23], v[204:205], v[22:23]
	;; [unrolled: 10-line block ×3, first 2 shown]
	v_fma_f64 v[202:203], v[4:5], s[12:13], v[200:201]
	v_fma_f64 v[200:201], v[4:5], s[12:13], -v[200:201]
	v_add_f64 v[34:35], v[202:203], v[34:35]
	v_mul_f64 v[202:203], v[6:7], s[12:13]
	v_add_f64 v[32:33], v[200:201], v[32:33]
	v_fma_f64 v[200:201], v[196:197], s[16:17], v[202:203]
	v_fma_f64 v[204:205], v[196:197], s[22:23], v[202:203]
	v_add_f64 v[36:37], v[200:201], v[36:37]
	v_mul_f64 v[200:201], v[198:199], s[40:41]
	v_mul_f64 v[198:199], v[198:199], s[4:5]
	v_add_f64 v[38:39], v[204:205], v[38:39]
	v_fma_f64 v[202:203], v[4:5], s[24:25], v[200:201]
	v_fma_f64 v[200:201], v[4:5], s[24:25], -v[200:201]
	v_add_f64 v[42:43], v[202:203], v[42:43]
	v_mul_f64 v[202:203], v[6:7], s[24:25]
	v_add_f64 v[40:41], v[200:201], v[40:41]
	v_mul_f64 v[6:7], v[6:7], s[2:3]
	v_fma_f64 v[200:201], v[196:197], s[40:41], v[202:203]
	v_fma_f64 v[204:205], v[196:197], s[42:43], v[202:203]
	v_add_f64 v[44:45], v[200:201], v[44:45]
	v_fma_f64 v[200:201], v[4:5], s[2:3], v[198:199]
	v_fma_f64 v[4:5], v[4:5], s[2:3], -v[198:199]
	v_add_f64 v[46:47], v[204:205], v[46:47]
	v_add_f64 v[48:49], v[200:201], v[48:49]
	;; [unrolled: 1-line block ×3, first 2 shown]
	v_fma_f64 v[4:5], v[196:197], s[4:5], v[6:7]
	v_fma_f64 v[200:201], v[196:197], s[14:15], v[6:7]
	v_add_f64 v[6:7], v[190:191], v[194:195]
	v_add_f64 v[2:3], v[4:5], v[2:3]
	;; [unrolled: 1-line block ×3, first 2 shown]
	v_mul_f64 v[188:189], v[210:211], s[36:37]
	v_add_f64 v[50:51], v[200:201], v[50:51]
	v_fma_f64 v[190:191], v[4:5], s[20:21], v[188:189]
	v_add_f64 v[243:244], v[190:191], v[10:11]
	v_mul_f64 v[10:11], v[6:7], s[20:21]
	v_fma_f64 v[190:191], v[208:209], s[38:39], v[10:11]
	v_add_f64 v[194:195], v[190:191], v[14:15]
	v_fma_f64 v[14:15], v[4:5], s[20:21], -v[188:189]
	v_add_f64 v[239:240], v[14:15], v[8:9]
	v_fma_f64 v[8:9], v[208:209], s[36:37], v[10:11]
	v_add_f64 v[241:242], v[8:9], v[12:13]
	v_mul_f64 v[8:9], v[210:211], s[22:23]
	v_fma_f64 v[10:11], v[4:5], s[12:13], v[8:9]
	v_fma_f64 v[8:9], v[4:5], s[12:13], -v[8:9]
	v_add_f64 v[192:193], v[10:11], v[18:19]
	v_mul_f64 v[10:11], v[6:7], s[12:13]
	v_add_f64 v[190:191], v[8:9], v[16:17]
	v_fma_f64 v[8:9], v[208:209], s[22:23], v[10:11]
	v_fma_f64 v[12:13], v[208:209], s[16:17], v[10:11]
	v_add_f64 v[202:203], v[8:9], v[20:21]
	v_mul_f64 v[8:9], v[210:211], s[14:15]
	v_add_f64 v[188:189], v[12:13], v[22:23]
	v_fma_f64 v[10:11], v[4:5], s[2:3], v[8:9]
	v_fma_f64 v[8:9], v[4:5], s[2:3], -v[8:9]
	v_add_f64 v[200:201], v[10:11], v[26:27]
	v_mul_f64 v[10:11], v[6:7], s[2:3]
	v_add_f64 v[198:199], v[8:9], v[24:25]
	v_fma_f64 v[8:9], v[208:209], s[14:15], v[10:11]
	v_fma_f64 v[12:13], v[208:209], s[4:5], v[10:11]
	v_add_f64 v[235:236], v[8:9], v[28:29]
	v_mul_f64 v[8:9], v[210:211], s[40:41]
	v_add_f64 v[196:197], v[12:13], v[30:31]
	v_fma_f64 v[10:11], v[4:5], s[24:25], v[8:9]
	v_fma_f64 v[8:9], v[4:5], s[24:25], -v[8:9]
	v_add_f64 v[230:231], v[10:11], v[34:35]
	v_mul_f64 v[10:11], v[6:7], s[24:25]
	v_add_f64 v[206:207], v[8:9], v[32:33]
	v_fma_f64 v[8:9], v[208:209], s[40:41], v[10:11]
	v_fma_f64 v[12:13], v[208:209], s[42:43], v[10:11]
	v_add_f64 v[228:229], v[8:9], v[36:37]
	v_mul_f64 v[8:9], v[210:211], s[6:7]
	v_add_f64 v[204:205], v[12:13], v[38:39]
	v_fma_f64 v[10:11], v[4:5], s[0:1], v[8:9]
	v_fma_f64 v[8:9], v[4:5], s[0:1], -v[8:9]
	v_add_f64 v[222:223], v[10:11], v[42:43]
	v_mul_f64 v[10:11], v[6:7], s[0:1]
	v_add_f64 v[218:219], v[8:9], v[40:41]
	v_mul_f64 v[6:7], v[6:7], s[18:19]
	v_fma_f64 v[8:9], v[208:209], s[6:7], v[10:11]
	v_fma_f64 v[12:13], v[208:209], s[28:29], v[10:11]
	v_add_f64 v[220:221], v[8:9], v[44:45]
	v_mul_f64 v[8:9], v[210:211], s[30:31]
	v_add_f64 v[216:217], v[12:13], v[46:47]
	v_fma_f64 v[10:11], v[4:5], s[18:19], v[8:9]
	v_fma_f64 v[4:5], v[4:5], s[18:19], -v[8:9]
	v_add_f64 v[214:215], v[10:11], v[48:49]
	v_add_f64 v[210:211], v[4:5], v[0:1]
	v_fma_f64 v[0:1], v[208:209], s[30:31], v[6:7]
	v_fma_f64 v[10:11], v[208:209], s[26:27], v[6:7]
	v_add_f64 v[208:209], v[0:1], v[2:3]
	v_mul_f64 v[0:1], v[237:238], s[42:43]
	v_add_f64 v[212:213], v[10:11], v[50:51]
	v_fma_f64 v[2:3], v[226:227], s[24:25], v[0:1]
	v_fma_f64 v[0:1], v[226:227], s[24:25], -v[0:1]
	v_add_f64 v[184:185], v[2:3], v[243:244]
	v_mul_f64 v[2:3], v[233:234], s[24:25]
	v_add_f64 v[180:181], v[0:1], v[239:240]
	v_fma_f64 v[0:1], v[224:225], s[42:43], v[2:3]
	v_fma_f64 v[4:5], v[224:225], s[40:41], v[2:3]
	v_add_f64 v[182:183], v[0:1], v[241:242]
	v_mul_f64 v[0:1], v[237:238], s[6:7]
	v_add_f64 v[186:187], v[4:5], v[194:195]
	v_fma_f64 v[2:3], v[226:227], s[0:1], v[0:1]
	v_fma_f64 v[0:1], v[226:227], s[0:1], -v[0:1]
	v_add_f64 v[192:193], v[2:3], v[192:193]
	v_mul_f64 v[2:3], v[233:234], s[0:1]
	v_fma_f64 v[4:5], v[224:225], s[28:29], v[2:3]
	v_add_f64 v[194:195], v[4:5], v[188:189]
	v_add_f64 v[188:189], v[0:1], v[190:191]
	v_fma_f64 v[0:1], v[224:225], s[6:7], v[2:3]
	v_add_f64 v[190:191], v[0:1], v[202:203]
	v_mul_f64 v[0:1], v[237:238], s[36:37]
	v_fma_f64 v[2:3], v[226:227], s[20:21], v[0:1]
	v_fma_f64 v[0:1], v[226:227], s[20:21], -v[0:1]
	v_add_f64 v[200:201], v[2:3], v[200:201]
	v_mul_f64 v[2:3], v[233:234], s[20:21]
	v_fma_f64 v[4:5], v[224:225], s[38:39], v[2:3]
	v_add_f64 v[202:203], v[4:5], v[196:197]
	v_add_f64 v[196:197], v[0:1], v[198:199]
	v_fma_f64 v[0:1], v[224:225], s[36:37], v[2:3]
	v_add_f64 v[198:199], v[0:1], v[235:236]
	v_mul_f64 v[0:1], v[237:238], s[4:5]
	;; [unrolled: 10-line block ×4, first 2 shown]
	v_fma_f64 v[2:3], v[226:227], s[12:13], v[0:1]
	v_fma_f64 v[0:1], v[226:227], s[12:13], -v[0:1]
	v_add_f64 v[220:221], v[2:3], v[214:215]
	v_mul_f64 v[2:3], v[233:234], s[12:13]
	v_add_f64 v[210:211], v[0:1], v[210:211]
	v_fma_f64 v[4:5], v[224:225], s[16:17], v[2:3]
	v_fma_f64 v[0:1], v[224:225], s[22:23], v[2:3]
	v_add_f64 v[222:223], v[4:5], v[212:213]
	v_add_f64 v[212:213], v[0:1], v[208:209]
	ds_write_b128 v254, v[176:179]
	ds_write_b128 v254, v[184:187] offset:16
	ds_write_b128 v254, v[192:195] offset:32
	;; [unrolled: 1-line block ×12, first 2 shown]
	s_and_saveexec_b32 s33, vcc_lo
	s_cbranch_execz .LBB0_13
; %bb.12:
	v_add_f64 v[0:1], v[174:175], v[58:59]
	v_add_f64 v[2:3], v[172:173], v[56:57]
	v_add_f64 v[4:5], v[56:57], -v[92:93]
	v_add_f64 v[10:11], v[88:89], -v[104:105]
	v_add_f64 v[22:23], v[88:89], v[104:105]
	v_add_f64 v[26:27], v[80:81], -v[100:101]
	v_add_f64 v[34:35], v[76:77], -v[96:97]
	v_add_f64 v[38:39], v[58:59], v[94:95]
	v_add_f64 v[42:43], v[80:81], v[100:101]
	v_add_f64 v[46:47], v[78:79], -v[98:99]
	v_add_f64 v[50:51], v[78:79], v[98:99]
	v_add_f64 v[16:17], v[90:91], v[106:107]
	v_add_f64 v[18:19], v[84:85], -v[108:109]
	v_add_f64 v[20:21], v[90:91], -v[106:107]
	v_add_f64 v[24:25], v[86:87], v[110:111]
	v_add_f64 v[28:29], v[86:87], -v[110:111]
	v_add_f64 v[30:31], v[84:85], v[108:109]
	v_add_f64 v[32:33], v[82:83], v[102:103]
	v_add_f64 v[36:37], v[82:83], -v[102:103]
	v_add_f64 v[6:7], v[112:113], -v[116:117]
	v_add_f64 v[14:15], v[112:113], v[116:117]
	v_add_f64 v[8:9], v[114:115], v[118:119]
	;; [unrolled: 1-line block ×4, first 2 shown]
	v_mul_f64 v[40:41], v[4:5], s[42:43]
	v_mul_f64 v[44:45], v[4:5], s[36:37]
	;; [unrolled: 1-line block ×4, first 2 shown]
	v_add_f64 v[12:13], v[114:115], -v[118:119]
	v_mul_f64 v[198:199], v[10:11], s[22:23]
	v_mul_f64 v[206:207], v[34:35], s[42:43]
	;; [unrolled: 1-line block ×13, first 2 shown]
	v_add_f64 v[0:1], v[0:1], v[82:83]
	v_add_f64 v[2:3], v[2:3], v[80:81]
	v_add_f64 v[80:81], v[58:59], -v[94:95]
	v_add_f64 v[82:83], v[56:57], v[92:93]
	v_mul_f64 v[222:223], v[6:7], s[36:37]
	v_mul_f64 v[184:185], v[12:13], s[22:23]
	v_mul_f64 v[204:205], v[12:13], s[6:7]
	v_mul_f64 v[224:225], v[12:13], s[36:37]
	v_add_f64 v[0:1], v[0:1], v[86:87]
	v_add_f64 v[2:3], v[2:3], v[84:85]
	v_fma_f64 v[84:85], v[38:39], s[24:25], v[40:41]
	v_fma_f64 v[40:41], v[38:39], s[24:25], -v[40:41]
	v_fma_f64 v[86:87], v[38:39], s[12:13], v[78:79]
	v_fma_f64 v[78:79], v[38:39], s[12:13], -v[78:79]
	v_add_f64 v[0:1], v[0:1], v[90:91]
	v_add_f64 v[2:3], v[2:3], v[88:89]
	;; [unrolled: 1-line block ×11, first 2 shown]
	v_mul_f64 v[76:77], v[4:5], s[14:15]
	v_mul_f64 v[4:5], v[4:5], s[28:29]
	v_add_f64 v[0:1], v[0:1], v[110:111]
	v_add_f64 v[2:3], v[2:3], v[108:109]
	v_fma_f64 v[88:89], v[38:39], s[2:3], -v[76:77]
	v_fma_f64 v[76:77], v[38:39], s[2:3], v[76:77]
	v_fma_f64 v[90:91], v[38:39], s[0:1], -v[4:5]
	v_fma_f64 v[4:5], v[38:39], s[0:1], v[4:5]
	v_add_f64 v[0:1], v[0:1], v[102:103]
	v_add_f64 v[2:3], v[2:3], v[100:101]
	;; [unrolled: 1-line block ×6, first 2 shown]
	v_mul_f64 v[96:97], v[80:81], s[16:17]
	v_mul_f64 v[98:99], v[80:81], s[14:15]
	v_add_f64 v[58:59], v[0:1], v[94:95]
	v_add_f64 v[56:57], v[2:3], v[92:93]
	v_fma_f64 v[0:1], v[38:39], s[20:21], v[44:45]
	v_fma_f64 v[2:3], v[38:39], s[20:21], -v[44:45]
	v_fma_f64 v[44:45], v[38:39], s[18:19], v[48:49]
	v_fma_f64 v[48:49], v[38:39], s[18:19], -v[48:49]
	v_mul_f64 v[38:39], v[80:81], s[42:43]
	v_mul_f64 v[92:93], v[80:81], s[36:37]
	;; [unrolled: 1-line block ×4, first 2 shown]
	v_fma_f64 v[108:109], v[82:83], s[12:13], -v[96:97]
	v_fma_f64 v[96:97], v[82:83], s[12:13], v[96:97]
	v_fma_f64 v[110:111], v[82:83], s[2:3], v[98:99]
	v_fma_f64 v[98:99], v[82:83], s[2:3], -v[98:99]
	v_add_f64 v[0:1], v[174:175], v[0:1]
	v_add_f64 v[2:3], v[174:175], v[2:3]
	;; [unrolled: 1-line block ×4, first 2 shown]
	v_fma_f64 v[100:101], v[82:83], s[24:25], -v[38:39]
	v_fma_f64 v[38:39], v[82:83], s[24:25], v[38:39]
	v_fma_f64 v[102:103], v[82:83], s[20:21], -v[92:93]
	v_fma_f64 v[92:93], v[82:83], s[20:21], v[92:93]
	;; [unrolled: 2-line block ×3, first 2 shown]
	v_fma_f64 v[112:113], v[82:83], s[0:1], v[80:81]
	v_fma_f64 v[80:81], v[82:83], s[0:1], -v[80:81]
	v_add_f64 v[82:83], v[174:175], v[84:85]
	v_add_f64 v[108:109], v[172:173], v[108:109]
	;; [unrolled: 1-line block ×14, first 2 shown]
	v_mul_f64 v[80:81], v[34:35], s[6:7]
	v_add_f64 v[102:103], v[174:175], v[78:79]
	v_add_f64 v[94:95], v[174:175], v[90:91]
	v_fma_f64 v[76:77], v[50:51], s[0:1], v[80:81]
	v_fma_f64 v[80:81], v[50:51], s[0:1], -v[80:81]
	v_add_f64 v[76:77], v[76:77], v[82:83]
	v_mul_f64 v[82:83], v[46:47], s[6:7]
	v_add_f64 v[40:41], v[80:81], v[40:41]
	v_fma_f64 v[78:79], v[104:105], s[0:1], -v[82:83]
	v_fma_f64 v[80:81], v[104:105], s[0:1], v[82:83]
	v_add_f64 v[78:79], v[78:79], v[84:85]
	v_mul_f64 v[84:85], v[26:27], s[36:37]
	v_add_f64 v[38:39], v[80:81], v[38:39]
	v_fma_f64 v[86:87], v[32:33], s[20:21], v[84:85]
	v_fma_f64 v[80:81], v[32:33], s[20:21], -v[84:85]
	v_fma_f64 v[84:85], v[14:15], s[12:13], v[184:185]
	v_add_f64 v[76:77], v[86:87], v[76:77]
	v_mul_f64 v[86:87], v[36:37], s[36:37]
	v_add_f64 v[40:41], v[80:81], v[40:41]
	v_fma_f64 v[88:89], v[42:43], s[20:21], -v[86:87]
	v_fma_f64 v[80:81], v[42:43], s[20:21], v[86:87]
	v_add_f64 v[78:79], v[88:89], v[78:79]
	v_mul_f64 v[88:89], v[18:19], s[4:5]
	v_add_f64 v[38:39], v[80:81], v[38:39]
	v_fma_f64 v[90:91], v[24:25], s[2:3], v[88:89]
	v_fma_f64 v[80:81], v[24:25], s[2:3], -v[88:89]
	v_mul_f64 v[88:89], v[26:27], s[14:15]
	v_add_f64 v[76:77], v[90:91], v[76:77]
	v_mul_f64 v[90:91], v[28:29], s[4:5]
	v_add_f64 v[40:41], v[80:81], v[40:41]
	v_fma_f64 v[86:87], v[32:33], s[2:3], v[88:89]
	v_fma_f64 v[98:99], v[30:31], s[2:3], -v[90:91]
	v_fma_f64 v[80:81], v[30:31], s[2:3], v[90:91]
	v_mul_f64 v[90:91], v[36:37], s[14:15]
	v_add_f64 v[78:79], v[98:99], v[78:79]
	v_mul_f64 v[98:99], v[10:11], s[30:31]
	v_add_f64 v[38:39], v[80:81], v[38:39]
	v_fma_f64 v[174:175], v[16:17], s[18:19], v[98:99]
	v_fma_f64 v[80:81], v[16:17], s[18:19], -v[98:99]
	v_mul_f64 v[98:99], v[18:19], s[40:41]
	v_add_f64 v[76:77], v[174:175], v[76:77]
	v_mul_f64 v[174:175], v[20:21], s[30:31]
	v_add_f64 v[40:41], v[80:81], v[40:41]
	v_fma_f64 v[80:81], v[22:23], s[18:19], v[174:175]
	v_fma_f64 v[180:181], v[22:23], s[18:19], -v[174:175]
	v_mul_f64 v[174:175], v[10:11], s[6:7]
	v_add_f64 v[38:39], v[80:81], v[38:39]
	v_fma_f64 v[80:81], v[8:9], s[12:13], -v[182:183]
	v_add_f64 v[180:181], v[180:181], v[78:79]
	v_fma_f64 v[78:79], v[8:9], s[12:13], v[182:183]
	v_mul_f64 v[182:183], v[6:7], s[30:31]
	v_mul_f64 v[6:7], v[6:7], s[4:5]
	v_add_f64 v[82:83], v[80:81], v[40:41]
	v_add_f64 v[80:81], v[84:85], v[38:39]
	v_mul_f64 v[38:39], v[34:35], s[22:23]
	v_add_f64 v[78:79], v[78:79], v[76:77]
	v_fma_f64 v[76:77], v[14:15], s[12:13], -v[184:185]
	v_fma_f64 v[40:41], v[50:51], s[12:13], v[38:39]
	v_fma_f64 v[38:39], v[50:51], s[12:13], -v[38:39]
	v_add_f64 v[76:77], v[76:77], v[180:181]
	v_mul_f64 v[180:181], v[20:21], s[6:7]
	v_add_f64 v[0:1], v[40:41], v[0:1]
	v_mul_f64 v[40:41], v[46:47], s[22:23]
	v_add_f64 v[2:3], v[38:39], v[2:3]
	v_add_f64 v[0:1], v[86:87], v[0:1]
	v_fma_f64 v[84:85], v[104:105], s[12:13], -v[40:41]
	v_fma_f64 v[86:87], v[42:43], s[2:3], -v[90:91]
	v_fma_f64 v[38:39], v[104:105], s[12:13], v[40:41]
	v_fma_f64 v[40:41], v[32:33], s[2:3], -v[88:89]
	v_add_f64 v[84:85], v[84:85], v[100:101]
	v_mul_f64 v[100:101], v[28:29], s[40:41]
	v_add_f64 v[38:39], v[38:39], v[92:93]
	v_add_f64 v[2:3], v[40:41], v[2:3]
	v_fma_f64 v[40:41], v[42:43], s[2:3], v[90:91]
	v_add_f64 v[84:85], v[86:87], v[84:85]
	v_fma_f64 v[86:87], v[24:25], s[24:25], v[98:99]
	v_add_f64 v[38:39], v[40:41], v[38:39]
	v_fma_f64 v[40:41], v[24:25], s[24:25], -v[98:99]
	v_add_f64 v[0:1], v[86:87], v[0:1]
	v_fma_f64 v[86:87], v[30:31], s[24:25], -v[100:101]
	v_add_f64 v[2:3], v[40:41], v[2:3]
	v_fma_f64 v[40:41], v[30:31], s[24:25], v[100:101]
	v_add_f64 v[84:85], v[86:87], v[84:85]
	v_fma_f64 v[86:87], v[16:17], s[0:1], v[174:175]
	v_add_f64 v[38:39], v[40:41], v[38:39]
	v_fma_f64 v[40:41], v[16:17], s[0:1], -v[174:175]
	v_mul_f64 v[174:175], v[36:37], s[16:17]
	v_add_f64 v[0:1], v[86:87], v[0:1]
	v_fma_f64 v[86:87], v[22:23], s[0:1], -v[180:181]
	v_add_f64 v[2:3], v[40:41], v[2:3]
	v_fma_f64 v[40:41], v[22:23], s[0:1], v[180:181]
	v_mul_f64 v[180:181], v[18:19], s[30:31]
	v_add_f64 v[84:85], v[86:87], v[84:85]
	v_fma_f64 v[86:87], v[8:9], s[18:19], v[182:183]
	v_add_f64 v[38:39], v[40:41], v[38:39]
	v_fma_f64 v[40:41], v[8:9], s[18:19], -v[182:183]
	v_mul_f64 v[182:183], v[28:29], s[30:31]
	v_add_f64 v[86:87], v[86:87], v[0:1]
	v_mul_f64 v[0:1], v[12:13], s[30:31]
	v_add_f64 v[90:91], v[40:41], v[2:3]
	v_fma_f64 v[184:185], v[14:15], s[18:19], -v[0:1]
	v_fma_f64 v[0:1], v[14:15], s[18:19], v[0:1]
	v_add_f64 v[84:85], v[184:185], v[84:85]
	v_add_f64 v[88:89], v[0:1], v[38:39]
	v_mul_f64 v[38:39], v[46:47], s[14:15]
	v_mul_f64 v[0:1], v[34:35], s[14:15]
	;; [unrolled: 1-line block ×4, first 2 shown]
	v_fma_f64 v[40:41], v[104:105], s[2:3], v[38:39]
	v_fma_f64 v[2:3], v[50:51], s[2:3], -v[0:1]
	v_fma_f64 v[0:1], v[50:51], s[2:3], v[0:1]
	v_fma_f64 v[38:39], v[104:105], s[2:3], -v[38:39]
	v_add_f64 v[40:41], v[40:41], v[112:113]
	v_mul_f64 v[112:113], v[26:27], s[16:17]
	v_add_f64 v[2:3], v[2:3], v[94:95]
	v_add_f64 v[0:1], v[0:1], v[4:5]
	v_fma_f64 v[4:5], v[42:43], s[24:25], -v[192:193]
	v_add_f64 v[38:39], v[38:39], v[172:173]
	v_fma_f64 v[92:93], v[32:33], s[12:13], -v[112:113]
	v_add_f64 v[2:3], v[92:93], v[2:3]
	v_fma_f64 v[92:93], v[42:43], s[12:13], v[174:175]
	v_add_f64 v[40:41], v[92:93], v[40:41]
	v_fma_f64 v[92:93], v[24:25], s[18:19], -v[180:181]
	v_add_f64 v[2:3], v[92:93], v[2:3]
	v_fma_f64 v[92:93], v[30:31], s[18:19], v[182:183]
	v_add_f64 v[40:41], v[92:93], v[40:41]
	v_fma_f64 v[92:93], v[16:17], s[20:21], -v[184:185]
	v_add_f64 v[2:3], v[92:93], v[2:3]
	v_fma_f64 v[92:93], v[22:23], s[20:21], v[186:187]
	v_add_f64 v[40:41], v[92:93], v[40:41]
	v_fma_f64 v[92:93], v[8:9], s[24:25], -v[188:189]
	v_add_f64 v[94:95], v[92:93], v[2:3]
	v_mul_f64 v[2:3], v[12:13], s[42:43]
	v_mul_f64 v[12:13], v[12:13], s[4:5]
	v_fma_f64 v[92:93], v[14:15], s[24:25], v[2:3]
	v_fma_f64 v[2:3], v[14:15], s[24:25], -v[2:3]
	v_add_f64 v[92:93], v[92:93], v[40:41]
	v_mul_f64 v[40:41], v[34:35], s[30:31]
	v_mul_f64 v[34:35], v[34:35], s[38:39]
	v_fma_f64 v[98:99], v[50:51], s[18:19], -v[40:41]
	v_add_f64 v[96:97], v[98:99], v[96:97]
	v_fma_f64 v[98:99], v[104:105], s[18:19], v[190:191]
	v_add_f64 v[98:99], v[98:99], v[110:111]
	v_mul_f64 v[110:111], v[26:27], s[42:43]
	v_mul_f64 v[26:27], v[26:27], s[6:7]
	v_fma_f64 v[100:101], v[32:33], s[24:25], -v[110:111]
	v_add_f64 v[96:97], v[100:101], v[96:97]
	v_fma_f64 v[100:101], v[42:43], s[24:25], v[192:193]
	v_add_f64 v[98:99], v[100:101], v[98:99]
	v_fma_f64 v[100:101], v[24:25], s[20:21], -v[194:195]
	v_add_f64 v[96:97], v[100:101], v[96:97]
	v_fma_f64 v[100:101], v[30:31], s[20:21], v[196:197]
	v_add_f64 v[98:99], v[100:101], v[98:99]
	v_fma_f64 v[100:101], v[16:17], s[12:13], -v[198:199]
	v_add_f64 v[96:97], v[100:101], v[96:97]
	v_fma_f64 v[100:101], v[22:23], s[12:13], v[200:201]
	v_add_f64 v[100:101], v[100:101], v[98:99]
	v_fma_f64 v[98:99], v[8:9], s[0:1], -v[202:203]
	v_add_f64 v[98:99], v[98:99], v[96:97]
	v_fma_f64 v[96:97], v[14:15], s[0:1], v[204:205]
	v_add_f64 v[96:97], v[96:97], v[100:101]
	v_fma_f64 v[100:101], v[50:51], s[24:25], -v[206:207]
	v_add_f64 v[100:101], v[100:101], v[102:103]
	v_fma_f64 v[102:103], v[32:33], s[18:19], -v[208:209]
	v_add_f64 v[100:101], v[102:103], v[100:101]
	v_fma_f64 v[102:103], v[104:105], s[24:25], v[210:211]
	v_add_f64 v[102:103], v[102:103], v[118:119]
	v_mul_f64 v[118:119], v[18:19], s[6:7]
	v_mul_f64 v[18:19], v[18:19], s[16:17]
	v_fma_f64 v[212:213], v[24:25], s[0:1], -v[118:119]
	v_add_f64 v[100:101], v[212:213], v[100:101]
	v_mul_f64 v[212:213], v[36:37], s[26:27]
	v_mul_f64 v[36:37], v[36:37], s[6:7]
	v_fma_f64 v[214:215], v[42:43], s[18:19], v[212:213]
	v_add_f64 v[102:103], v[214:215], v[102:103]
	v_mul_f64 v[214:215], v[28:29], s[6:7]
	v_mul_f64 v[28:29], v[28:29], s[16:17]
	v_fma_f64 v[216:217], v[30:31], s[0:1], v[214:215]
	v_add_f64 v[102:103], v[216:217], v[102:103]
	v_mul_f64 v[216:217], v[10:11], s[14:15]
	v_mul_f64 v[10:11], v[10:11], s[40:41]
	v_fma_f64 v[218:219], v[16:17], s[2:3], -v[216:217]
	v_add_f64 v[100:101], v[218:219], v[100:101]
	v_mul_f64 v[218:219], v[20:21], s[14:15]
	v_mul_f64 v[20:21], v[20:21], s[40:41]
	v_fma_f64 v[220:221], v[22:23], s[2:3], v[218:219]
	v_add_f64 v[220:221], v[220:221], v[102:103]
	v_fma_f64 v[102:103], v[8:9], s[20:21], -v[222:223]
	v_add_f64 v[102:103], v[102:103], v[100:101]
	v_fma_f64 v[100:101], v[14:15], s[20:21], v[224:225]
	v_add_f64 v[100:101], v[100:101], v[220:221]
	v_fma_f64 v[220:221], v[50:51], s[20:21], -v[34:35]
	v_fma_f64 v[34:35], v[50:51], s[20:21], v[34:35]
	v_add_f64 v[48:49], v[220:221], v[48:49]
	v_fma_f64 v[220:221], v[104:105], s[20:21], v[46:47]
	v_add_f64 v[34:35], v[34:35], v[44:45]
	v_fma_f64 v[44:45], v[104:105], s[20:21], -v[46:47]
	v_add_f64 v[114:115], v[220:221], v[114:115]
	v_fma_f64 v[220:221], v[32:33], s[0:1], -v[26:27]
	v_fma_f64 v[26:27], v[32:33], s[0:1], v[26:27]
	v_add_f64 v[44:45], v[44:45], v[106:107]
	v_add_f64 v[48:49], v[220:221], v[48:49]
	v_fma_f64 v[220:221], v[42:43], s[0:1], v[36:37]
	v_add_f64 v[26:27], v[26:27], v[34:35]
	v_fma_f64 v[34:35], v[50:51], s[24:25], v[206:207]
	v_fma_f64 v[36:37], v[42:43], s[0:1], -v[36:37]
	v_add_f64 v[114:115], v[220:221], v[114:115]
	v_fma_f64 v[220:221], v[24:25], s[12:13], -v[18:19]
	v_fma_f64 v[18:19], v[24:25], s[12:13], v[18:19]
	v_add_f64 v[34:35], v[34:35], v[116:117]
	v_add_f64 v[36:37], v[36:37], v[44:45]
	v_fma_f64 v[44:45], v[32:33], s[24:25], v[110:111]
	v_add_f64 v[48:49], v[220:221], v[48:49]
	v_fma_f64 v[220:221], v[30:31], s[12:13], v[28:29]
	;; [unrolled: 2-line block ×3, first 2 shown]
	v_fma_f64 v[28:29], v[30:31], s[12:13], -v[28:29]
	v_fma_f64 v[32:33], v[32:33], s[12:13], v[112:113]
	v_add_f64 v[114:115], v[220:221], v[114:115]
	v_fma_f64 v[220:221], v[16:17], s[24:25], -v[10:11]
	v_add_f64 v[26:27], v[26:27], v[34:35]
	v_fma_f64 v[34:35], v[104:105], s[24:25], -v[210:211]
	v_add_f64 v[28:29], v[28:29], v[36:37]
	v_fma_f64 v[36:37], v[24:25], s[0:1], v[118:119]
	v_add_f64 v[0:1], v[32:33], v[0:1]
	v_fma_f64 v[32:33], v[30:31], s[20:21], -v[196:197]
	v_fma_f64 v[10:11], v[16:17], s[24:25], v[10:11]
	v_add_f64 v[48:49], v[220:221], v[48:49]
	v_fma_f64 v[220:221], v[22:23], s[24:25], v[20:21]
	v_add_f64 v[34:35], v[34:35], v[108:109]
	v_fma_f64 v[20:21], v[22:23], s[24:25], -v[20:21]
	v_add_f64 v[26:27], v[36:37], v[26:27]
	v_fma_f64 v[36:37], v[42:43], s[18:19], -v[212:213]
	v_fma_f64 v[42:43], v[42:43], s[12:13], -v[174:175]
	v_add_f64 v[10:11], v[10:11], v[18:19]
	v_add_f64 v[114:115], v[220:221], v[114:115]
	;; [unrolled: 1-line block ×3, first 2 shown]
	v_fma_f64 v[28:29], v[8:9], s[2:3], -v[6:7]
	v_add_f64 v[34:35], v[36:37], v[34:35]
	v_fma_f64 v[36:37], v[30:31], s[0:1], -v[214:215]
	v_fma_f64 v[30:31], v[30:31], s[18:19], -v[182:183]
	v_add_f64 v[38:39], v[42:43], v[38:39]
	v_fma_f64 v[42:43], v[22:23], s[12:13], -v[200:201]
	v_fma_f64 v[6:7], v[8:9], s[2:3], v[6:7]
	v_add_f64 v[106:107], v[28:29], v[48:49]
	v_add_f64 v[34:35], v[36:37], v[34:35]
	v_fma_f64 v[36:37], v[50:51], s[18:19], v[40:41]
	v_fma_f64 v[40:41], v[104:105], s[18:19], -v[190:191]
	v_add_f64 v[30:31], v[30:31], v[38:39]
	v_fma_f64 v[38:39], v[14:15], s[0:1], -v[204:205]
	v_add_f64 v[110:111], v[6:7], v[10:11]
	v_add_f64 v[36:37], v[36:37], v[176:177]
	;; [unrolled: 1-line block ×5, first 2 shown]
	v_fma_f64 v[40:41], v[24:25], s[20:21], v[194:195]
	v_fma_f64 v[24:25], v[24:25], s[18:19], v[180:181]
	v_add_f64 v[4:5], v[32:33], v[4:5]
	v_add_f64 v[36:37], v[40:41], v[36:37]
	v_fma_f64 v[32:33], v[16:17], s[2:3], v[216:217]
	v_fma_f64 v[40:41], v[16:17], s[12:13], v[198:199]
	;; [unrolled: 1-line block ×3, first 2 shown]
	v_add_f64 v[0:1], v[24:25], v[0:1]
	v_fma_f64 v[24:25], v[22:23], s[2:3], -v[218:219]
	v_fma_f64 v[22:23], v[22:23], s[20:21], -v[186:187]
	v_add_f64 v[4:5], v[42:43], v[4:5]
	v_add_f64 v[20:21], v[32:33], v[26:27]
	;; [unrolled: 1-line block ×3, first 2 shown]
	v_fma_f64 v[32:33], v[8:9], s[20:21], v[222:223]
	v_add_f64 v[0:1], v[16:17], v[0:1]
	v_fma_f64 v[16:17], v[14:15], s[2:3], v[12:13]
	v_fma_f64 v[12:13], v[14:15], s[2:3], -v[12:13]
	v_add_f64 v[24:25], v[24:25], v[34:35]
	v_fma_f64 v[36:37], v[14:15], s[20:21], -v[224:225]
	v_fma_f64 v[34:35], v[8:9], s[0:1], v[202:203]
	v_fma_f64 v[8:9], v[8:9], s[24:25], v[188:189]
	v_add_f64 v[14:15], v[22:23], v[30:31]
	v_add_f64 v[116:117], v[38:39], v[4:5]
	;; [unrolled: 1-line block ×9, first 2 shown]
	ds_write_b128 v245, v[56:59] offset:2704
	ds_write_b128 v245, v[92:95] offset:2720
	;; [unrolled: 1-line block ×13, first 2 shown]
.LBB0_13:
	s_or_b32 exec_lo, exec_lo, s33
	s_waitcnt lgkmcnt(0)
	s_barrier
	buffer_gl0_inv
	ds_read_b128 v[56:59], v248 offset:1456
	ds_read_b128 v[76:79], v248 offset:1664
	ds_read_b128 v[80:83], v248 offset:1872
	ds_read_b128 v[84:87], v248 offset:2080
	ds_read_b128 v[88:91], v248 offset:2288
	ds_read_b128 v[92:95], v248 offset:2496
	ds_read_b128 v[96:99], v248 offset:2704
	ds_read_b128 v[100:103], v248 offset:1248
	ds_read_b128 v[104:107], v248
	ds_read_b128 v[108:111], v248 offset:208
	ds_read_b128 v[112:115], v248 offset:416
	ds_read_b128 v[116:119], v248 offset:624
	ds_read_b128 v[172:175], v248 offset:832
	ds_read_b128 v[176:179], v248 offset:1040
	s_waitcnt lgkmcnt(0)
	s_barrier
	buffer_gl0_inv
	s_mov_b32 s4, 0x37e14327
	s_mov_b32 s5, 0x3fe948f6
	;; [unrolled: 1-line block ×8, first 2 shown]
	v_mul_f64 v[0:1], v[54:55], v[58:59]
	v_mul_f64 v[2:3], v[54:55], v[56:57]
	;; [unrolled: 1-line block ×14, first 2 shown]
	s_mov_b32 s12, 0xaaaaaaaa
	s_mov_b32 s13, 0xbff2aaaa
	s_mov_b32 s14, 0x5476071b
	s_mov_b32 s16, 0xb247c609
	s_mov_b32 s15, 0x3fe77f67
	s_mov_b32 s19, 0xbfe77f67
	s_mov_b32 s17, 0xbfd5d0dc
	s_mov_b32 s18, s14
	v_fma_f64 v[0:1], v[52:53], v[56:57], v[0:1]
	v_fma_f64 v[2:3], v[52:53], v[58:59], -v[2:3]
	v_fma_f64 v[4:5], v[52:53], v[76:77], v[4:5]
	v_fma_f64 v[6:7], v[52:53], v[78:79], -v[6:7]
	;; [unrolled: 2-line block ×7, first 2 shown]
	s_mov_b32 s21, 0x3fd5d0dc
	s_mov_b32 s20, s16
	v_add_f64 v[52:53], v[104:105], -v[0:1]
	v_add_f64 v[54:55], v[106:107], -v[2:3]
	;; [unrolled: 1-line block ×14, first 2 shown]
	v_fma_f64 v[88:89], v[104:105], 2.0, -v[52:53]
	v_fma_f64 v[90:91], v[106:107], 2.0, -v[54:55]
	;; [unrolled: 1-line block ×14, first 2 shown]
	ds_write_b128 v248, v[52:55] offset:208
	ds_write_b128 v248, v[56:59] offset:624
	ds_write_b128 v248, v[88:91]
	ds_write_b128 v248, v[92:95] offset:416
	ds_write_b128 v246, v[96:99] offset:832
	;; [unrolled: 1-line block ×5, first 2 shown]
	buffer_load_dword v0, off, s[68:71], 0 offset:220 ; 4-byte Folded Reload
	s_waitcnt vmcnt(0)
	ds_write_b128 v0, v[108:111] offset:1664
	ds_write_b128 v0, v[76:79] offset:1872
	buffer_load_dword v0, off, s[68:71], 0 offset:224 ; 4-byte Folded Reload
	s_waitcnt vmcnt(0)
	ds_write_b128 v0, v[112:115] offset:2080
	ds_write_b128 v0, v[80:83] offset:2288
	ds_write_b128 v253, v[100:103] offset:2496
	ds_write_b128 v253, v[84:87] offset:2704
	s_waitcnt lgkmcnt(0)
	s_barrier
	buffer_gl0_inv
	ds_read_b128 v[52:55], v248 offset:416
	ds_read_b128 v[56:59], v248 offset:832
	;; [unrolled: 1-line block ×12, first 2 shown]
	s_waitcnt lgkmcnt(11)
	v_mul_f64 v[0:1], v[66:67], v[54:55]
	v_mul_f64 v[2:3], v[66:67], v[52:53]
	s_waitcnt lgkmcnt(10)
	v_mul_f64 v[4:5], v[62:63], v[58:59]
	v_mul_f64 v[6:7], v[62:63], v[56:57]
	s_waitcnt lgkmcnt(9)
	v_mul_f64 v[8:9], v[134:135], v[70:71]
	v_mul_f64 v[10:11], v[134:135], v[68:69]
	s_waitcnt lgkmcnt(8)
	v_mul_f64 v[12:13], v[138:139], v[74:75]
	v_mul_f64 v[14:15], v[138:139], v[72:73]
	s_waitcnt lgkmcnt(7)
	v_mul_f64 v[16:17], v[146:147], v[78:79]
	v_mul_f64 v[18:19], v[146:147], v[76:77]
	s_waitcnt lgkmcnt(6)
	v_mul_f64 v[20:21], v[142:143], v[82:83]
	v_mul_f64 v[22:23], v[142:143], v[80:81]
	s_waitcnt lgkmcnt(5)
	v_mul_f64 v[24:25], v[154:155], v[86:87]
	v_mul_f64 v[26:27], v[154:155], v[84:85]
	s_waitcnt lgkmcnt(4)
	v_mul_f64 v[28:29], v[150:151], v[90:91]
	v_mul_f64 v[30:31], v[150:151], v[88:89]
	s_waitcnt lgkmcnt(3)
	v_mul_f64 v[32:33], v[158:159], v[94:95]
	v_mul_f64 v[34:35], v[158:159], v[92:93]
	s_waitcnt lgkmcnt(2)
	v_mul_f64 v[36:37], v[162:163], v[98:99]
	v_mul_f64 v[38:39], v[162:163], v[96:97]
	s_waitcnt lgkmcnt(1)
	v_mul_f64 v[40:41], v[170:171], v[102:103]
	v_mul_f64 v[42:43], v[170:171], v[100:101]
	v_fma_f64 v[0:1], v[64:65], v[52:53], v[0:1]
	v_fma_f64 v[2:3], v[64:65], v[54:55], -v[2:3]
	v_fma_f64 v[4:5], v[60:61], v[56:57], v[4:5]
	v_fma_f64 v[6:7], v[60:61], v[58:59], -v[6:7]
	;; [unrolled: 2-line block ×4, first 2 shown]
	s_waitcnt lgkmcnt(0)
	v_mul_f64 v[44:45], v[166:167], v[106:107]
	v_mul_f64 v[46:47], v[166:167], v[104:105]
	v_fma_f64 v[16:17], v[144:145], v[76:77], v[16:17]
	v_fma_f64 v[18:19], v[144:145], v[78:79], -v[18:19]
	v_fma_f64 v[20:21], v[140:141], v[80:81], v[20:21]
	v_fma_f64 v[22:23], v[140:141], v[82:83], -v[22:23]
	;; [unrolled: 2-line block ×7, first 2 shown]
	ds_read_b128 v[52:55], v248
	ds_read_b128 v[56:59], v248 offset:208
	v_add_f64 v[48:49], v[0:1], v[8:9]
	v_add_f64 v[50:51], v[2:3], v[10:11]
	;; [unrolled: 1-line block ×4, first 2 shown]
	v_fma_f64 v[44:45], v[164:165], v[104:105], v[44:45]
	v_fma_f64 v[46:47], v[164:165], v[106:107], -v[46:47]
	v_add_f64 v[0:1], v[0:1], -v[8:9]
	v_add_f64 v[2:3], v[2:3], -v[10:11]
	v_add_f64 v[8:9], v[16:17], v[20:21]
	v_add_f64 v[10:11], v[18:19], v[22:23]
	v_add_f64 v[4:5], v[4:5], -v[12:13]
	v_add_f64 v[6:7], v[6:7], -v[14:15]
	;; [unrolled: 1-line block ×4, first 2 shown]
	v_add_f64 v[16:17], v[24:25], v[36:37]
	v_add_f64 v[18:19], v[26:27], v[38:39]
	v_add_f64 v[20:21], v[24:25], -v[36:37]
	v_add_f64 v[22:23], v[26:27], -v[38:39]
	v_add_f64 v[24:25], v[28:29], v[32:33]
	v_add_f64 v[26:27], v[30:31], v[34:35]
	v_add_f64 v[28:29], v[28:29], -v[32:33]
	v_add_f64 v[30:31], v[30:31], -v[34:35]
	v_add_f64 v[36:37], v[60:61], v[48:49]
	v_add_f64 v[38:39], v[62:63], v[50:51]
	;; [unrolled: 1-line block ×4, first 2 shown]
	v_add_f64 v[40:41], v[44:45], -v[40:41]
	v_add_f64 v[42:43], v[46:47], -v[42:43]
	;; [unrolled: 1-line block ×8, first 2 shown]
	v_add_f64 v[64:65], v[12:13], v[4:5]
	v_add_f64 v[66:67], v[14:15], v[6:7]
	v_add_f64 v[68:69], v[12:13], -v[4:5]
	v_add_f64 v[70:71], v[14:15], -v[6:7]
	v_add_f64 v[72:73], v[24:25], v[16:17]
	v_add_f64 v[74:75], v[26:27], v[18:19]
	v_add_f64 v[4:5], v[4:5], -v[0:1]
	v_add_f64 v[6:7], v[6:7], -v[2:3]
	;; [unrolled: 1-line block ×4, first 2 shown]
	v_add_f64 v[8:9], v[8:9], v[36:37]
	v_add_f64 v[10:11], v[10:11], v[38:39]
	v_add_f64 v[36:37], v[24:25], -v[16:17]
	v_add_f64 v[38:39], v[26:27], -v[18:19]
	;; [unrolled: 1-line block ×6, first 2 shown]
	v_add_f64 v[76:77], v[40:41], v[28:29]
	v_add_f64 v[78:79], v[42:43], v[30:31]
	v_add_f64 v[80:81], v[40:41], -v[28:29]
	v_add_f64 v[82:83], v[42:43], -v[30:31]
	v_mul_f64 v[48:49], v[48:49], s[4:5]
	v_mul_f64 v[50:51], v[50:51], s[4:5]
	v_add_f64 v[28:29], v[28:29], -v[20:21]
	v_add_f64 v[30:31], v[30:31], -v[22:23]
	v_add_f64 v[32:33], v[32:33], v[72:73]
	v_add_f64 v[34:35], v[34:35], v[74:75]
	v_mul_f64 v[72:73], v[60:61], s[0:1]
	v_mul_f64 v[74:75], v[62:63], s[0:1]
	v_add_f64 v[0:1], v[64:65], v[0:1]
	v_add_f64 v[2:3], v[66:67], v[2:3]
	s_waitcnt lgkmcnt(1)
	v_add_f64 v[52:53], v[52:53], v[8:9]
	v_add_f64 v[54:55], v[54:55], v[10:11]
	v_mul_f64 v[64:65], v[68:69], s[6:7]
	v_mul_f64 v[66:67], v[70:71], s[6:7]
	;; [unrolled: 1-line block ×4, first 2 shown]
	v_add_f64 v[40:41], v[20:21], -v[40:41]
	v_add_f64 v[42:43], v[22:23], -v[42:43]
	v_add_f64 v[20:21], v[76:77], v[20:21]
	v_add_f64 v[22:23], v[78:79], v[22:23]
	v_mul_f64 v[16:17], v[16:17], s[4:5]
	v_mul_f64 v[18:19], v[18:19], s[4:5]
	;; [unrolled: 1-line block ×6, first 2 shown]
	v_fma_f64 v[60:61], v[60:61], s[0:1], v[48:49]
	v_fma_f64 v[62:63], v[62:63], s[0:1], v[50:51]
	s_waitcnt lgkmcnt(0)
	v_add_f64 v[56:57], v[56:57], v[32:33]
	v_add_f64 v[58:59], v[58:59], v[34:35]
	v_mul_f64 v[84:85], v[28:29], s[2:3]
	v_mul_f64 v[86:87], v[30:31], s[2:3]
	v_fma_f64 v[8:9], v[8:9], s[12:13], v[52:53]
	v_fma_f64 v[10:11], v[10:11], s[12:13], v[54:55]
	v_fma_f64 v[72:73], v[44:45], s[14:15], -v[72:73]
	v_fma_f64 v[74:75], v[46:47], s[14:15], -v[74:75]
	v_fma_f64 v[44:45], v[44:45], s[18:19], -v[48:49]
	v_fma_f64 v[46:47], v[46:47], s[18:19], -v[50:51]
	v_fma_f64 v[48:49], v[12:13], s[16:17], v[64:65]
	v_fma_f64 v[50:51], v[14:15], s[16:17], v[66:67]
	v_fma_f64 v[12:13], v[12:13], s[20:21], -v[68:69]
	v_fma_f64 v[14:15], v[14:15], s[20:21], -v[70:71]
	v_fma_f64 v[4:5], v[4:5], s[2:3], -v[64:65]
	v_fma_f64 v[6:7], v[6:7], s[2:3], -v[66:67]
	;; [unrolled: 6-line block ×3, first 2 shown]
	v_fma_f64 v[32:33], v[32:33], s[12:13], v[56:57]
	v_fma_f64 v[34:35], v[34:35], s[12:13], v[58:59]
	v_fma_f64 v[30:31], v[30:31], s[2:3], -v[82:83]
	v_fma_f64 v[28:29], v[28:29], s[2:3], -v[80:81]
	v_add_f64 v[36:37], v[60:61], v[8:9]
	v_add_f64 v[38:39], v[62:63], v[10:11]
	v_fma_f64 v[60:61], v[42:43], s[16:17], v[82:83]
	v_fma_f64 v[62:63], v[40:41], s[16:17], v[80:81]
	v_fma_f64 v[42:43], v[42:43], s[20:21], -v[86:87]
	v_fma_f64 v[40:41], v[40:41], s[20:21], -v[84:85]
	s_mov_b32 s0, 0x37c3f68c
	s_mov_b32 s1, 0xbfdc38aa
	v_add_f64 v[72:73], v[72:73], v[8:9]
	v_add_f64 v[74:75], v[74:75], v[10:11]
	;; [unrolled: 1-line block ×4, first 2 shown]
	v_fma_f64 v[44:45], v[2:3], s[0:1], v[50:51]
	v_fma_f64 v[46:47], v[0:1], s[0:1], v[48:49]
	;; [unrolled: 1-line block ×6, first 2 shown]
	v_add_f64 v[4:5], v[24:25], v[32:33]
	v_add_f64 v[6:7], v[26:27], v[34:35]
	;; [unrolled: 1-line block ×6, first 2 shown]
	v_fma_f64 v[32:33], v[22:23], s[0:1], v[60:61]
	v_fma_f64 v[34:35], v[20:21], s[0:1], v[62:63]
	;; [unrolled: 1-line block ×6, first 2 shown]
	s_mov_b32 s2, 0x16816817
	s_mov_b32 s3, 0x3f768168
	s_mul_hi_u32 s1, s8, 0xe0
	s_mul_i32 s4, s8, 0xe0
	v_add_f64 v[60:61], v[44:45], v[36:37]
	v_add_f64 v[62:63], v[38:39], -v[46:47]
	v_add_f64 v[64:65], v[14:15], v[8:9]
	v_add_f64 v[66:67], v[10:11], -v[12:13]
	v_add_f64 v[68:69], v[72:73], -v[2:3]
	v_add_f64 v[70:71], v[0:1], v[74:75]
	v_add_f64 v[72:73], v[2:3], v[72:73]
	v_add_f64 v[74:75], v[74:75], -v[0:1]
	v_add_f64 v[76:77], v[8:9], -v[14:15]
	v_add_f64 v[78:79], v[12:13], v[10:11]
	v_add_f64 v[80:81], v[36:37], -v[44:45]
	v_add_f64 v[82:83], v[46:47], v[38:39]
	v_add_f64 v[84:85], v[32:33], v[4:5]
	v_add_f64 v[86:87], v[6:7], -v[34:35]
	v_add_f64 v[88:89], v[42:43], v[16:17]
	v_add_f64 v[90:91], v[18:19], -v[40:41]
	v_add_f64 v[92:93], v[24:25], -v[22:23]
	v_add_f64 v[94:95], v[20:21], v[26:27]
	v_add_f64 v[96:97], v[22:23], v[24:25]
	v_add_f64 v[98:99], v[26:27], -v[20:21]
	v_add_f64 v[100:101], v[16:17], -v[42:43]
	v_add_f64 v[102:103], v[40:41], v[18:19]
	v_add_f64 v[104:105], v[4:5], -v[32:33]
	v_add_f64 v[106:107], v[34:35], v[6:7]
	ds_write_b128 v248, v[52:55]
	ds_write_b128 v248, v[60:63] offset:416
	ds_write_b128 v248, v[64:67] offset:832
	;; [unrolled: 1-line block ×13, first 2 shown]
	s_waitcnt lgkmcnt(0)
	s_barrier
	buffer_gl0_inv
	ds_read_b128 v[52:55], v248
	ds_read_b128 v[56:59], v248 offset:224
	s_clause 0x3
	buffer_load_dword v17, off, s[68:71], 0 offset:204
	buffer_load_dword v18, off, s[68:71], 0 offset:208
	buffer_load_dword v19, off, s[68:71], 0 offset:212
	buffer_load_dword v20, off, s[68:71], 0 offset:216
	ds_read_b128 v[60:63], v248 offset:448
	s_clause 0x1
	buffer_load_dword v4, off, s[68:71], 0 offset:4
	buffer_load_dword v5, off, s[68:71], 0 offset:8
	v_mad_u64_u32 v[6:7], null, s8, v232, 0
	s_waitcnt vmcnt(2) lgkmcnt(2)
	v_mul_f64 v[0:1], v[19:20], v[54:55]
	v_mul_f64 v[2:3], v[19:20], v[52:53]
	s_clause 0x3
	buffer_load_dword v19, off, s[68:71], 0 offset:172
	buffer_load_dword v20, off, s[68:71], 0 offset:176
	;; [unrolled: 1-line block ×4, first 2 shown]
	s_waitcnt vmcnt(5)
	v_mov_b32_e32 v10, v4
	ds_read_b128 v[64:67], v248 offset:672
	s_waitcnt vmcnt(4)
	v_mad_u64_u32 v[4:5], null, s10, v10, 0
	v_mad_u64_u32 v[10:11], null, s11, v10, v[5:6]
	v_mov_b32_e32 v5, v7
	v_fma_f64 v[0:1], v[17:18], v[52:53], v[0:1]
	v_fma_f64 v[2:3], v[17:18], v[54:55], -v[2:3]
	v_mad_u64_u32 v[17:18], null, s9, v232, v[5:6]
	v_mov_b32_e32 v5, v10
	v_lshlrev_b64 v[4:5], 4, v[4:5]
	v_mov_b32_e32 v7, v17
	v_lshlrev_b64 v[6:7], 4, v[6:7]
	v_add_co_u32 v38, s0, s64, v4
	v_add_co_ci_u32_e64 v39, s0, s65, v5, s0
	v_add_co_u32 v4, s0, v38, v6
	v_mul_f64 v[50:51], v[0:1], s[2:3]
	v_mul_f64 v[52:53], v[2:3], s[2:3]
	v_add_co_ci_u32_e64 v5, s0, v39, v7, s0
	s_mul_i32 s0, s9, 0xe0
	s_add_i32 s1, s1, s0
	s_waitcnt vmcnt(0) lgkmcnt(2)
	v_mul_f64 v[8:9], v[21:22], v[58:59]
	v_mul_f64 v[11:12], v[21:22], v[56:57]
	s_clause 0x3
	buffer_load_dword v21, off, s[68:71], 0 offset:188
	buffer_load_dword v22, off, s[68:71], 0 offset:192
	;; [unrolled: 1-line block ×4, first 2 shown]
	ds_read_b128 v[46:49], v248 offset:896
	ds_read_b128 v[40:43], v248 offset:1120
	s_clause 0x3
	buffer_load_dword v27, off, s[68:71], 0 offset:156
	buffer_load_dword v28, off, s[68:71], 0 offset:160
	;; [unrolled: 1-line block ×4, first 2 shown]
	v_fma_f64 v[8:9], v[19:20], v[56:57], v[8:9]
	v_fma_f64 v[10:11], v[19:20], v[58:59], -v[11:12]
	ds_read_b128 v[54:57], v248 offset:1344
	v_mul_f64 v[58:59], v[8:9], s[2:3]
	s_waitcnt vmcnt(4) lgkmcnt(4)
	v_mul_f64 v[13:14], v[23:24], v[62:63]
	v_mul_f64 v[15:16], v[23:24], v[60:61]
	s_waitcnt vmcnt(0) lgkmcnt(3)
	v_mul_f64 v[17:18], v[29:30], v[66:67]
	v_mul_f64 v[19:20], v[29:30], v[64:65]
	v_fma_f64 v[12:13], v[21:22], v[60:61], v[13:14]
	v_fma_f64 v[14:15], v[21:22], v[62:63], -v[15:16]
	s_clause 0x3
	buffer_load_dword v21, off, s[68:71], 0 offset:140
	buffer_load_dword v22, off, s[68:71], 0 offset:144
	;; [unrolled: 1-line block ×4, first 2 shown]
	v_mul_f64 v[60:61], v[10:11], s[2:3]
	v_fma_f64 v[8:9], v[27:28], v[64:65], v[17:18]
	v_add_co_u32 v18, s0, v4, s4
	v_mul_f64 v[68:69], v[12:13], s[2:3]
	v_mul_f64 v[70:71], v[14:15], s[2:3]
	v_fma_f64 v[12:13], v[27:28], v[66:67], -v[19:20]
	v_add_co_ci_u32_e64 v19, s0, s1, v5, s0
	v_add_co_u32 v20, s0, v18, s4
	v_mul_f64 v[28:29], v[12:13], s[2:3]
	s_waitcnt vmcnt(0) lgkmcnt(2)
	v_mul_f64 v[0:1], v[23:24], v[48:49]
	v_mul_f64 v[2:3], v[23:24], v[46:47]
	s_clause 0x3
	buffer_load_dword v23, off, s[68:71], 0 offset:124
	buffer_load_dword v24, off, s[68:71], 0 offset:128
	;; [unrolled: 1-line block ×4, first 2 shown]
	ds_read_b128 v[34:37], v248 offset:1568
	s_clause 0x3
	buffer_load_dword v30, off, s[68:71], 0 offset:108
	buffer_load_dword v31, off, s[68:71], 0 offset:112
	;; [unrolled: 1-line block ×4, first 2 shown]
	v_fma_f64 v[0:1], v[21:22], v[46:47], v[0:1]
	v_fma_f64 v[2:3], v[21:22], v[48:49], -v[2:3]
	v_add_co_ci_u32_e64 v21, s0, s1, v19, s0
	global_store_dwordx4 v[4:5], v[50:53], off
	global_store_dwordx4 v[18:19], v[58:61], off
	;; [unrolled: 1-line block ×3, first 2 shown]
	s_waitcnt vmcnt(4) lgkmcnt(2)
	v_mul_f64 v[6:7], v[25:26], v[42:43]
	v_mul_f64 v[10:11], v[25:26], v[40:41]
	s_waitcnt vmcnt(0) lgkmcnt(1)
	v_mul_f64 v[14:15], v[32:33], v[56:57]
	v_mul_f64 v[16:17], v[32:33], v[54:55]
	;; [unrolled: 1-line block ×4, first 2 shown]
	v_fma_f64 v[4:5], v[23:24], v[40:41], v[6:7]
	v_fma_f64 v[6:7], v[23:24], v[42:43], -v[10:11]
	s_clause 0x3
	buffer_load_dword v22, off, s[68:71], 0 offset:44
	buffer_load_dword v23, off, s[68:71], 0 offset:48
	;; [unrolled: 1-line block ×4, first 2 shown]
	v_fma_f64 v[12:13], v[30:31], v[54:55], v[14:15]
	ds_read_b128 v[40:43], v248 offset:1792
	ds_read_b128 v[44:47], v248 offset:2016
	;; [unrolled: 1-line block ×5, first 2 shown]
	s_clause 0x3
	buffer_load_dword v77, off, s[68:71], 0 offset:12
	buffer_load_dword v78, off, s[68:71], 0 offset:16
	buffer_load_dword v79, off, s[68:71], 0 offset:20
	buffer_load_dword v80, off, s[68:71], 0 offset:24
	v_fma_f64 v[14:15], v[30:31], v[56:57], -v[16:17]
	buffer_load_dword v76, off, s[68:71], 0 ; 4-byte Folded Reload
	v_add_co_u32 v16, s0, v20, s4
	v_add_co_ci_u32_e64 v17, s0, s1, v21, s0
	v_mul_f64 v[30:31], v[0:1], s[2:3]
	v_add_co_u32 v0, s0, v16, s4
	v_add_co_ci_u32_e64 v1, s0, s1, v17, s0
	v_mul_f64 v[56:57], v[4:5], s[2:3]
	v_mul_f64 v[58:59], v[6:7], s[2:3]
	v_add_co_u32 v6, s0, v0, s4
	v_add_co_ci_u32_e64 v7, s0, s1, v1, s0
	v_add_co_u32 v74, s0, v6, s4
	v_add_co_ci_u32_e64 v75, s0, s1, v7, s0
	s_waitcnt vmcnt(5) lgkmcnt(5)
	v_mul_f64 v[8:9], v[24:25], v[36:37]
	v_mul_f64 v[10:11], v[24:25], v[34:35]
	s_waitcnt vmcnt(0)
	v_mad_u64_u32 v[18:19], null, s8, v76, 0
	v_fma_f64 v[2:3], v[22:23], v[34:35], v[8:9]
	v_fma_f64 v[4:5], v[22:23], v[36:37], -v[10:11]
	v_mul_f64 v[8:9], v[12:13], s[2:3]
	v_mul_f64 v[10:11], v[14:15], s[2:3]
	s_waitcnt lgkmcnt(4)
	v_mul_f64 v[12:13], v[79:80], v[42:43]
	v_mul_f64 v[14:15], v[79:80], v[40:41]
	s_clause 0x7
	buffer_load_dword v79, off, s[68:71], 0 offset:28
	buffer_load_dword v80, off, s[68:71], 0 offset:32
	buffer_load_dword v81, off, s[68:71], 0 offset:36
	buffer_load_dword v82, off, s[68:71], 0 offset:40
	buffer_load_dword v85, off, s[68:71], 0 offset:76
	buffer_load_dword v86, off, s[68:71], 0 offset:80
	buffer_load_dword v87, off, s[68:71], 0 offset:84
	buffer_load_dword v88, off, s[68:71], 0 offset:88
	v_mul_f64 v[22:23], v[2:3], s[2:3]
	v_add_co_u32 v3, s0, v74, s4
	v_mul_f64 v[24:25], v[4:5], s[2:3]
	v_mov_b32_e32 v2, v19
	v_fma_f64 v[12:13], v[77:78], v[40:41], v[12:13]
	v_fma_f64 v[14:15], v[77:78], v[42:43], -v[14:15]
	v_add_co_ci_u32_e64 v4, s0, s1, v75, s0
	v_mad_u64_u32 v[40:41], null, s9, v76, v[2:3]
	v_mad_u64_u32 v[41:42], null, 0x1c0, s8, v[3:4]
	v_mov_b32_e32 v19, v40
	s_waitcnt vmcnt(4) lgkmcnt(3)
	v_mul_f64 v[20:21], v[81:82], v[46:47]
	v_mul_f64 v[34:35], v[81:82], v[44:45]
	s_clause 0x3
	buffer_load_dword v81, off, s[68:71], 0 offset:60
	buffer_load_dword v82, off, s[68:71], 0 offset:64
	;; [unrolled: 1-line block ×4, first 2 shown]
	s_waitcnt vmcnt(4) lgkmcnt(2)
	v_mul_f64 v[36:37], v[87:88], v[50:51]
	v_mul_f64 v[64:65], v[87:88], v[48:49]
	s_clause 0x3
	buffer_load_dword v87, off, s[68:71], 0 offset:92
	buffer_load_dword v88, off, s[68:71], 0 offset:96
	buffer_load_dword v89, off, s[68:71], 0 offset:100
	buffer_load_dword v90, off, s[68:71], 0 offset:104
	global_store_dwordx4 v[16:17], v[26:29], off
	global_store_dwordx4 v[0:1], v[30:33], off
	v_mov_b32_e32 v0, v42
	global_store_dwordx4 v[6:7], v[56:59], off
	global_store_dwordx4 v[74:75], v[8:11], off
	;; [unrolled: 1-line block ×3, first 2 shown]
	v_mul_f64 v[2:3], v[14:15], s[2:3]
	v_lshlrev_b64 v[22:23], 4, v[18:19]
	v_mad_u64_u32 v[8:9], null, 0x1c0, s9, v[0:1]
	v_mul_f64 v[0:1], v[12:13], s[2:3]
	v_mov_b32_e32 v42, v8
	v_fma_f64 v[20:21], v[79:80], v[44:45], v[20:21]
	v_fma_f64 v[34:35], v[79:80], v[46:47], -v[34:35]
	v_fma_f64 v[36:37], v[85:86], v[48:49], v[36:37]
	v_fma_f64 v[43:44], v[85:86], v[50:51], -v[64:65]
	v_mul_f64 v[4:5], v[20:21], s[2:3]
	v_mul_f64 v[6:7], v[34:35], s[2:3]
	v_add_co_u32 v20, s0, v41, s4
	v_mul_f64 v[8:9], v[36:37], s[2:3]
	v_mul_f64 v[10:11], v[43:44], s[2:3]
	v_add_co_ci_u32_e64 v21, s0, s1, v42, s0
	v_add_co_u32 v22, s0, v38, v22
	v_add_co_ci_u32_e64 v23, s0, v39, v23, s0
	v_add_co_u32 v24, s0, v20, s4
	v_add_co_ci_u32_e64 v25, s0, s1, v21, s0
	global_store_dwordx4 v[22:23], v[0:3], off
	v_add_co_u32 v0, s0, v24, s4
	v_add_co_ci_u32_e64 v1, s0, s1, v25, s0
	s_waitcnt vmcnt(4) lgkmcnt(1)
	v_mul_f64 v[66:67], v[83:84], v[54:55]
	v_mul_f64 v[68:69], v[83:84], v[52:53]
	s_waitcnt vmcnt(0) lgkmcnt(0)
	v_mul_f64 v[70:71], v[89:90], v[62:63]
	v_mul_f64 v[72:73], v[89:90], v[60:61]
	v_fma_f64 v[45:46], v[81:82], v[52:53], v[66:67]
	v_fma_f64 v[47:48], v[81:82], v[54:55], -v[68:69]
	v_fma_f64 v[49:50], v[87:88], v[60:61], v[70:71]
	v_fma_f64 v[51:52], v[87:88], v[62:63], -v[72:73]
	v_mul_f64 v[12:13], v[45:46], s[2:3]
	v_mul_f64 v[14:15], v[47:48], s[2:3]
	;; [unrolled: 1-line block ×4, first 2 shown]
	global_store_dwordx4 v[41:42], v[4:7], off
	global_store_dwordx4 v[20:21], v[8:11], off
	;; [unrolled: 1-line block ×4, first 2 shown]
	s_and_b32 exec_lo, exec_lo, vcc_lo
	s_cbranch_execz .LBB0_15
; %bb.14:
	s_load_dwordx4 s[4:7], s[34:35], 0xd0
	ds_read_b128 v[0:3], v245 offset:208
	ds_read_b128 v[4:7], v245 offset:432
	s_waitcnt lgkmcnt(0)
	v_mul_f64 v[8:9], v[2:3], s[6:7]
	v_mul_f64 v[10:11], v[0:1], s[6:7]
	v_fma_f64 v[0:1], v[0:1], s[4:5], v[8:9]
	v_fma_f64 v[2:3], s[4:5], v[2:3], -v[10:11]
	v_mad_u64_u32 v[8:9], null, 0xd0, s8, v[38:39]
	v_mad_u64_u32 v[9:10], null, 0xd0, s9, v[9:10]
	v_mul_f64 v[0:1], v[0:1], s[2:3]
	v_mul_f64 v[2:3], v[2:3], s[2:3]
	global_store_dwordx4 v[8:9], v[0:3], off
	s_load_dwordx4 s[4:7], s[34:35], 0x1b0
	s_waitcnt lgkmcnt(0)
	v_mul_f64 v[0:1], v[6:7], s[6:7]
	v_mul_f64 v[2:3], v[4:5], s[6:7]
	v_fma_f64 v[0:1], v[4:5], s[4:5], v[0:1]
	v_fma_f64 v[2:3], s[4:5], v[6:7], -v[2:3]
	v_mad_u64_u32 v[4:5], null, 0x1b0, s8, v[38:39]
	v_mad_u64_u32 v[5:6], null, 0x1b0, s9, v[5:6]
	v_mul_f64 v[0:1], v[0:1], s[2:3]
	v_mul_f64 v[2:3], v[2:3], s[2:3]
	global_store_dwordx4 v[4:5], v[0:3], off
	s_load_dwordx4 s[4:7], s[34:35], 0x290
	ds_read_b128 v[0:3], v245 offset:656
	ds_read_b128 v[4:7], v245 offset:880
	s_waitcnt lgkmcnt(0)
	v_mul_f64 v[8:9], v[2:3], s[6:7]
	v_mul_f64 v[10:11], v[0:1], s[6:7]
	v_fma_f64 v[0:1], v[0:1], s[4:5], v[8:9]
	v_fma_f64 v[2:3], s[4:5], v[2:3], -v[10:11]
	v_mad_u64_u32 v[8:9], null, 0x290, s8, v[38:39]
	v_mad_u64_u32 v[9:10], null, 0x290, s9, v[9:10]
	v_mul_f64 v[0:1], v[0:1], s[2:3]
	v_mul_f64 v[2:3], v[2:3], s[2:3]
	global_store_dwordx4 v[8:9], v[0:3], off
	s_load_dwordx4 s[4:7], s[34:35], 0x370
	s_waitcnt lgkmcnt(0)
	v_mul_f64 v[0:1], v[6:7], s[6:7]
	v_mul_f64 v[2:3], v[4:5], s[6:7]
	v_fma_f64 v[0:1], v[4:5], s[4:5], v[0:1]
	v_fma_f64 v[2:3], s[4:5], v[6:7], -v[2:3]
	v_mad_u64_u32 v[4:5], null, 0x370, s8, v[38:39]
	v_mad_u64_u32 v[5:6], null, 0x370, s9, v[5:6]
	v_mul_f64 v[0:1], v[0:1], s[2:3]
	v_mul_f64 v[2:3], v[2:3], s[2:3]
	global_store_dwordx4 v[4:5], v[0:3], off
	;; [unrolled: 24-line block ×5, first 2 shown]
	s_load_dwordx4 s[4:7], s[34:35], 0x990
	ds_read_b128 v[0:3], v245 offset:2448
	ds_read_b128 v[4:7], v245 offset:2672
	s_waitcnt lgkmcnt(0)
	v_mul_f64 v[8:9], v[2:3], s[6:7]
	v_mul_f64 v[10:11], v[0:1], s[6:7]
	v_fma_f64 v[0:1], v[0:1], s[4:5], v[8:9]
	v_fma_f64 v[2:3], s[4:5], v[2:3], -v[10:11]
	v_mad_u64_u32 v[8:9], null, 0x990, s8, v[38:39]
	v_mad_u64_u32 v[9:10], null, 0x990, s9, v[9:10]
	v_mul_f64 v[0:1], v[0:1], s[2:3]
	v_mul_f64 v[2:3], v[2:3], s[2:3]
	global_store_dwordx4 v[8:9], v[0:3], off
	s_load_dwordx4 s[4:7], s[34:35], 0xa70
	v_mad_u64_u32 v[8:9], null, 0xa70, s8, v[38:39]
	s_waitcnt lgkmcnt(0)
	v_mul_f64 v[0:1], v[6:7], s[6:7]
	v_mul_f64 v[2:3], v[4:5], s[6:7]
	v_fma_f64 v[0:1], v[4:5], s[4:5], v[0:1]
	v_fma_f64 v[2:3], s[4:5], v[6:7], -v[2:3]
	v_mov_b32_e32 v4, v9
	v_mad_u64_u32 v[4:5], null, 0xa70, s9, v[4:5]
	v_mov_b32_e32 v9, v4
	ds_read_b128 v[4:7], v245 offset:2896
	v_mul_f64 v[0:1], v[0:1], s[2:3]
	v_mul_f64 v[2:3], v[2:3], s[2:3]
	global_store_dwordx4 v[8:9], v[0:3], off
	s_load_dwordx4 s[4:7], s[34:35], 0xb50
	s_waitcnt lgkmcnt(0)
	v_mul_f64 v[0:1], v[6:7], s[6:7]
	v_mul_f64 v[2:3], v[4:5], s[6:7]
	v_fma_f64 v[0:1], v[4:5], s[4:5], v[0:1]
	v_fma_f64 v[2:3], s[4:5], v[6:7], -v[2:3]
	v_mad_u64_u32 v[4:5], null, 0xb50, s8, v[38:39]
                                        ; kill: def $vgpr6 killed $sgpr0 killed $exec
	v_mad_u64_u32 v[5:6], null, 0xb50, s9, v[5:6]
	v_mul_f64 v[0:1], v[0:1], s[2:3]
	v_mul_f64 v[2:3], v[2:3], s[2:3]
	global_store_dwordx4 v[4:5], v[0:3], off
.LBB0_15:
	s_endpgm
	.section	.rodata,"a",@progbits
	.p2align	6, 0x0
	.amdhsa_kernel bluestein_single_back_len182_dim1_dp_op_CI_CI
		.amdhsa_group_segment_fixed_size 11648
		.amdhsa_private_segment_fixed_size 232
		.amdhsa_kernarg_size 104
		.amdhsa_user_sgpr_count 6
		.amdhsa_user_sgpr_private_segment_buffer 1
		.amdhsa_user_sgpr_dispatch_ptr 0
		.amdhsa_user_sgpr_queue_ptr 0
		.amdhsa_user_sgpr_kernarg_segment_ptr 1
		.amdhsa_user_sgpr_dispatch_id 0
		.amdhsa_user_sgpr_flat_scratch_init 0
		.amdhsa_user_sgpr_private_segment_size 0
		.amdhsa_wavefront_size32 1
		.amdhsa_uses_dynamic_stack 0
		.amdhsa_system_sgpr_private_segment_wavefront_offset 1
		.amdhsa_system_sgpr_workgroup_id_x 1
		.amdhsa_system_sgpr_workgroup_id_y 0
		.amdhsa_system_sgpr_workgroup_id_z 0
		.amdhsa_system_sgpr_workgroup_info 0
		.amdhsa_system_vgpr_workitem_id 0
		.amdhsa_next_free_vgpr 256
		.amdhsa_next_free_sgpr 72
		.amdhsa_reserve_vcc 1
		.amdhsa_reserve_flat_scratch 0
		.amdhsa_float_round_mode_32 0
		.amdhsa_float_round_mode_16_64 0
		.amdhsa_float_denorm_mode_32 3
		.amdhsa_float_denorm_mode_16_64 3
		.amdhsa_dx10_clamp 1
		.amdhsa_ieee_mode 1
		.amdhsa_fp16_overflow 0
		.amdhsa_workgroup_processor_mode 1
		.amdhsa_memory_ordered 1
		.amdhsa_forward_progress 0
		.amdhsa_shared_vgpr_count 0
		.amdhsa_exception_fp_ieee_invalid_op 0
		.amdhsa_exception_fp_denorm_src 0
		.amdhsa_exception_fp_ieee_div_zero 0
		.amdhsa_exception_fp_ieee_overflow 0
		.amdhsa_exception_fp_ieee_underflow 0
		.amdhsa_exception_fp_ieee_inexact 0
		.amdhsa_exception_int_div_zero 0
	.end_amdhsa_kernel
	.text
.Lfunc_end0:
	.size	bluestein_single_back_len182_dim1_dp_op_CI_CI, .Lfunc_end0-bluestein_single_back_len182_dim1_dp_op_CI_CI
                                        ; -- End function
	.section	.AMDGPU.csdata,"",@progbits
; Kernel info:
; codeLenInByte = 28532
; NumSgprs: 74
; NumVgprs: 256
; ScratchSize: 232
; MemoryBound: 0
; FloatMode: 240
; IeeeMode: 1
; LDSByteSize: 11648 bytes/workgroup (compile time only)
; SGPRBlocks: 9
; VGPRBlocks: 31
; NumSGPRsForWavesPerEU: 74
; NumVGPRsForWavesPerEU: 256
; Occupancy: 4
; WaveLimiterHint : 1
; COMPUTE_PGM_RSRC2:SCRATCH_EN: 1
; COMPUTE_PGM_RSRC2:USER_SGPR: 6
; COMPUTE_PGM_RSRC2:TRAP_HANDLER: 0
; COMPUTE_PGM_RSRC2:TGID_X_EN: 1
; COMPUTE_PGM_RSRC2:TGID_Y_EN: 0
; COMPUTE_PGM_RSRC2:TGID_Z_EN: 0
; COMPUTE_PGM_RSRC2:TIDIG_COMP_CNT: 0
	.text
	.p2alignl 6, 3214868480
	.fill 48, 4, 3214868480
	.type	__hip_cuid_532ee4996037791f,@object ; @__hip_cuid_532ee4996037791f
	.section	.bss,"aw",@nobits
	.globl	__hip_cuid_532ee4996037791f
__hip_cuid_532ee4996037791f:
	.byte	0                               ; 0x0
	.size	__hip_cuid_532ee4996037791f, 1

	.ident	"AMD clang version 19.0.0git (https://github.com/RadeonOpenCompute/llvm-project roc-6.4.0 25133 c7fe45cf4b819c5991fe208aaa96edf142730f1d)"
	.section	".note.GNU-stack","",@progbits
	.addrsig
	.addrsig_sym __hip_cuid_532ee4996037791f
	.amdgpu_metadata
---
amdhsa.kernels:
  - .args:
      - .actual_access:  read_only
        .address_space:  global
        .offset:         0
        .size:           8
        .value_kind:     global_buffer
      - .actual_access:  read_only
        .address_space:  global
        .offset:         8
        .size:           8
        .value_kind:     global_buffer
      - .actual_access:  read_only
        .address_space:  global
        .offset:         16
        .size:           8
        .value_kind:     global_buffer
      - .actual_access:  read_only
        .address_space:  global
        .offset:         24
        .size:           8
        .value_kind:     global_buffer
      - .actual_access:  read_only
        .address_space:  global
        .offset:         32
        .size:           8
        .value_kind:     global_buffer
      - .offset:         40
        .size:           8
        .value_kind:     by_value
      - .address_space:  global
        .offset:         48
        .size:           8
        .value_kind:     global_buffer
      - .address_space:  global
        .offset:         56
        .size:           8
        .value_kind:     global_buffer
      - .address_space:  global
        .offset:         64
        .size:           8
        .value_kind:     global_buffer
      - .address_space:  global
        .offset:         72
        .size:           8
        .value_kind:     global_buffer
      - .offset:         80
        .size:           4
        .value_kind:     by_value
      - .address_space:  global
        .offset:         88
        .size:           8
        .value_kind:     global_buffer
      - .address_space:  global
        .offset:         96
        .size:           8
        .value_kind:     global_buffer
    .group_segment_fixed_size: 11648
    .kernarg_segment_align: 8
    .kernarg_segment_size: 104
    .language:       OpenCL C
    .language_version:
      - 2
      - 0
    .max_flat_workgroup_size: 52
    .name:           bluestein_single_back_len182_dim1_dp_op_CI_CI
    .private_segment_fixed_size: 232
    .sgpr_count:     74
    .sgpr_spill_count: 0
    .symbol:         bluestein_single_back_len182_dim1_dp_op_CI_CI.kd
    .uniform_work_group_size: 1
    .uses_dynamic_stack: false
    .vgpr_count:     256
    .vgpr_spill_count: 57
    .wavefront_size: 32
    .workgroup_processor_mode: 1
amdhsa.target:   amdgcn-amd-amdhsa--gfx1030
amdhsa.version:
  - 1
  - 2
...

	.end_amdgpu_metadata
